;; amdgpu-corpus repo=ROCm/rocFFT kind=compiled arch=gfx1100 opt=O3
	.text
	.amdgcn_target "amdgcn-amd-amdhsa--gfx1100"
	.amdhsa_code_object_version 6
	.protected	fft_rtc_fwd_len1836_factors_17_3_3_2_6_wgs_153_tpt_153_halfLds_dp_op_CI_CI_unitstride_sbrr_C2R_dirReg ; -- Begin function fft_rtc_fwd_len1836_factors_17_3_3_2_6_wgs_153_tpt_153_halfLds_dp_op_CI_CI_unitstride_sbrr_C2R_dirReg
	.globl	fft_rtc_fwd_len1836_factors_17_3_3_2_6_wgs_153_tpt_153_halfLds_dp_op_CI_CI_unitstride_sbrr_C2R_dirReg
	.p2align	8
	.type	fft_rtc_fwd_len1836_factors_17_3_3_2_6_wgs_153_tpt_153_halfLds_dp_op_CI_CI_unitstride_sbrr_C2R_dirReg,@function
fft_rtc_fwd_len1836_factors_17_3_3_2_6_wgs_153_tpt_153_halfLds_dp_op_CI_CI_unitstride_sbrr_C2R_dirReg: ; @fft_rtc_fwd_len1836_factors_17_3_3_2_6_wgs_153_tpt_153_halfLds_dp_op_CI_CI_unitstride_sbrr_C2R_dirReg
; %bb.0:
	s_clause 0x2
	s_load_b128 s[8:11], s[0:1], 0x0
	s_load_b128 s[4:7], s[0:1], 0x58
	;; [unrolled: 1-line block ×3, first 2 shown]
	v_mul_u32_u24_e32 v1, 0x1ad, v0
	v_mov_b32_e32 v3, 0
	s_delay_alu instid0(VALU_DEP_2) | instskip(NEXT) | instid1(VALU_DEP_1)
	v_lshrrev_b32_e32 v1, 16, v1
	v_add_nc_u32_e32 v5, s15, v1
	v_mov_b32_e32 v1, 0
	v_mov_b32_e32 v2, 0
	;; [unrolled: 1-line block ×3, first 2 shown]
	s_waitcnt lgkmcnt(0)
	v_cmp_lt_u64_e64 s2, s[10:11], 2
	s_delay_alu instid0(VALU_DEP_1)
	s_and_b32 vcc_lo, exec_lo, s2
	s_cbranch_vccnz .LBB0_8
; %bb.1:
	s_load_b64 s[2:3], s[0:1], 0x10
	v_mov_b32_e32 v1, 0
	v_mov_b32_e32 v2, 0
	s_add_u32 s12, s18, 8
	s_addc_u32 s13, s19, 0
	s_add_u32 s14, s16, 8
	s_addc_u32 s15, s17, 0
	v_dual_mov_b32 v69, v2 :: v_dual_mov_b32 v68, v1
	s_mov_b64 s[22:23], 1
	s_waitcnt lgkmcnt(0)
	s_add_u32 s20, s2, 8
	s_addc_u32 s21, s3, 0
.LBB0_2:                                ; =>This Inner Loop Header: Depth=1
	s_load_b64 s[24:25], s[20:21], 0x0
                                        ; implicit-def: $vgpr72_vgpr73
	s_mov_b32 s2, exec_lo
	s_waitcnt lgkmcnt(0)
	v_or_b32_e32 v4, s25, v6
	s_delay_alu instid0(VALU_DEP_1)
	v_cmpx_ne_u64_e32 0, v[3:4]
	s_xor_b32 s3, exec_lo, s2
	s_cbranch_execz .LBB0_4
; %bb.3:                                ;   in Loop: Header=BB0_2 Depth=1
	v_cvt_f32_u32_e32 v4, s24
	v_cvt_f32_u32_e32 v7, s25
	s_sub_u32 s2, 0, s24
	s_subb_u32 s26, 0, s25
	s_delay_alu instid0(VALU_DEP_1) | instskip(NEXT) | instid1(VALU_DEP_1)
	v_fmac_f32_e32 v4, 0x4f800000, v7
	v_rcp_f32_e32 v4, v4
	s_waitcnt_depctr 0xfff
	v_mul_f32_e32 v4, 0x5f7ffffc, v4
	s_delay_alu instid0(VALU_DEP_1) | instskip(NEXT) | instid1(VALU_DEP_1)
	v_mul_f32_e32 v7, 0x2f800000, v4
	v_trunc_f32_e32 v7, v7
	s_delay_alu instid0(VALU_DEP_1) | instskip(SKIP_1) | instid1(VALU_DEP_2)
	v_fmac_f32_e32 v4, 0xcf800000, v7
	v_cvt_u32_f32_e32 v7, v7
	v_cvt_u32_f32_e32 v4, v4
	s_delay_alu instid0(VALU_DEP_2) | instskip(NEXT) | instid1(VALU_DEP_2)
	v_mul_lo_u32 v8, s2, v7
	v_mul_hi_u32 v9, s2, v4
	v_mul_lo_u32 v10, s26, v4
	s_delay_alu instid0(VALU_DEP_2) | instskip(SKIP_1) | instid1(VALU_DEP_2)
	v_add_nc_u32_e32 v8, v9, v8
	v_mul_lo_u32 v9, s2, v4
	v_add_nc_u32_e32 v8, v8, v10
	s_delay_alu instid0(VALU_DEP_2) | instskip(NEXT) | instid1(VALU_DEP_2)
	v_mul_hi_u32 v10, v4, v9
	v_mul_lo_u32 v11, v4, v8
	v_mul_hi_u32 v12, v4, v8
	v_mul_hi_u32 v13, v7, v9
	v_mul_lo_u32 v9, v7, v9
	v_mul_hi_u32 v14, v7, v8
	v_mul_lo_u32 v8, v7, v8
	v_add_co_u32 v10, vcc_lo, v10, v11
	v_add_co_ci_u32_e32 v11, vcc_lo, 0, v12, vcc_lo
	s_delay_alu instid0(VALU_DEP_2) | instskip(NEXT) | instid1(VALU_DEP_2)
	v_add_co_u32 v9, vcc_lo, v10, v9
	v_add_co_ci_u32_e32 v9, vcc_lo, v11, v13, vcc_lo
	v_add_co_ci_u32_e32 v10, vcc_lo, 0, v14, vcc_lo
	s_delay_alu instid0(VALU_DEP_2) | instskip(NEXT) | instid1(VALU_DEP_2)
	v_add_co_u32 v8, vcc_lo, v9, v8
	v_add_co_ci_u32_e32 v9, vcc_lo, 0, v10, vcc_lo
	s_delay_alu instid0(VALU_DEP_2) | instskip(NEXT) | instid1(VALU_DEP_2)
	v_add_co_u32 v4, vcc_lo, v4, v8
	v_add_co_ci_u32_e32 v7, vcc_lo, v7, v9, vcc_lo
	s_delay_alu instid0(VALU_DEP_2) | instskip(SKIP_1) | instid1(VALU_DEP_3)
	v_mul_hi_u32 v8, s2, v4
	v_mul_lo_u32 v10, s26, v4
	v_mul_lo_u32 v9, s2, v7
	s_delay_alu instid0(VALU_DEP_1) | instskip(SKIP_1) | instid1(VALU_DEP_2)
	v_add_nc_u32_e32 v8, v8, v9
	v_mul_lo_u32 v9, s2, v4
	v_add_nc_u32_e32 v8, v8, v10
	s_delay_alu instid0(VALU_DEP_2) | instskip(NEXT) | instid1(VALU_DEP_2)
	v_mul_hi_u32 v10, v4, v9
	v_mul_lo_u32 v11, v4, v8
	v_mul_hi_u32 v12, v4, v8
	v_mul_hi_u32 v13, v7, v9
	v_mul_lo_u32 v9, v7, v9
	v_mul_hi_u32 v14, v7, v8
	v_mul_lo_u32 v8, v7, v8
	v_add_co_u32 v10, vcc_lo, v10, v11
	v_add_co_ci_u32_e32 v11, vcc_lo, 0, v12, vcc_lo
	s_delay_alu instid0(VALU_DEP_2) | instskip(NEXT) | instid1(VALU_DEP_2)
	v_add_co_u32 v9, vcc_lo, v10, v9
	v_add_co_ci_u32_e32 v9, vcc_lo, v11, v13, vcc_lo
	v_add_co_ci_u32_e32 v10, vcc_lo, 0, v14, vcc_lo
	s_delay_alu instid0(VALU_DEP_2) | instskip(NEXT) | instid1(VALU_DEP_2)
	v_add_co_u32 v8, vcc_lo, v9, v8
	v_add_co_ci_u32_e32 v9, vcc_lo, 0, v10, vcc_lo
	s_delay_alu instid0(VALU_DEP_2) | instskip(NEXT) | instid1(VALU_DEP_2)
	v_add_co_u32 v4, vcc_lo, v4, v8
	v_add_co_ci_u32_e32 v13, vcc_lo, v7, v9, vcc_lo
	s_delay_alu instid0(VALU_DEP_2) | instskip(SKIP_1) | instid1(VALU_DEP_3)
	v_mul_hi_u32 v14, v5, v4
	v_mad_u64_u32 v[9:10], null, v6, v4, 0
	v_mad_u64_u32 v[7:8], null, v5, v13, 0
	;; [unrolled: 1-line block ×3, first 2 shown]
	s_delay_alu instid0(VALU_DEP_2) | instskip(NEXT) | instid1(VALU_DEP_3)
	v_add_co_u32 v4, vcc_lo, v14, v7
	v_add_co_ci_u32_e32 v7, vcc_lo, 0, v8, vcc_lo
	s_delay_alu instid0(VALU_DEP_2) | instskip(NEXT) | instid1(VALU_DEP_2)
	v_add_co_u32 v4, vcc_lo, v4, v9
	v_add_co_ci_u32_e32 v4, vcc_lo, v7, v10, vcc_lo
	v_add_co_ci_u32_e32 v7, vcc_lo, 0, v12, vcc_lo
	s_delay_alu instid0(VALU_DEP_2) | instskip(NEXT) | instid1(VALU_DEP_2)
	v_add_co_u32 v4, vcc_lo, v4, v11
	v_add_co_ci_u32_e32 v9, vcc_lo, 0, v7, vcc_lo
	s_delay_alu instid0(VALU_DEP_2) | instskip(SKIP_1) | instid1(VALU_DEP_3)
	v_mul_lo_u32 v10, s25, v4
	v_mad_u64_u32 v[7:8], null, s24, v4, 0
	v_mul_lo_u32 v11, s24, v9
	s_delay_alu instid0(VALU_DEP_2) | instskip(NEXT) | instid1(VALU_DEP_2)
	v_sub_co_u32 v7, vcc_lo, v5, v7
	v_add3_u32 v8, v8, v11, v10
	s_delay_alu instid0(VALU_DEP_1) | instskip(NEXT) | instid1(VALU_DEP_1)
	v_sub_nc_u32_e32 v10, v6, v8
	v_subrev_co_ci_u32_e64 v10, s2, s25, v10, vcc_lo
	v_add_co_u32 v11, s2, v4, 2
	s_delay_alu instid0(VALU_DEP_1) | instskip(SKIP_3) | instid1(VALU_DEP_3)
	v_add_co_ci_u32_e64 v12, s2, 0, v9, s2
	v_sub_co_u32 v13, s2, v7, s24
	v_sub_co_ci_u32_e32 v8, vcc_lo, v6, v8, vcc_lo
	v_subrev_co_ci_u32_e64 v10, s2, 0, v10, s2
	v_cmp_le_u32_e32 vcc_lo, s24, v13
	s_delay_alu instid0(VALU_DEP_3) | instskip(SKIP_1) | instid1(VALU_DEP_4)
	v_cmp_eq_u32_e64 s2, s25, v8
	v_cndmask_b32_e64 v13, 0, -1, vcc_lo
	v_cmp_le_u32_e32 vcc_lo, s25, v10
	v_cndmask_b32_e64 v14, 0, -1, vcc_lo
	v_cmp_le_u32_e32 vcc_lo, s24, v7
	;; [unrolled: 2-line block ×3, first 2 shown]
	v_cndmask_b32_e64 v15, 0, -1, vcc_lo
	v_cmp_eq_u32_e32 vcc_lo, s25, v10
	s_delay_alu instid0(VALU_DEP_2) | instskip(SKIP_3) | instid1(VALU_DEP_3)
	v_cndmask_b32_e64 v7, v15, v7, s2
	v_cndmask_b32_e32 v10, v14, v13, vcc_lo
	v_add_co_u32 v13, vcc_lo, v4, 1
	v_add_co_ci_u32_e32 v14, vcc_lo, 0, v9, vcc_lo
	v_cmp_ne_u32_e32 vcc_lo, 0, v10
	s_delay_alu instid0(VALU_DEP_2) | instskip(NEXT) | instid1(VALU_DEP_4)
	v_cndmask_b32_e32 v8, v14, v12, vcc_lo
	v_cndmask_b32_e32 v10, v13, v11, vcc_lo
	v_cmp_ne_u32_e32 vcc_lo, 0, v7
	s_delay_alu instid0(VALU_DEP_2)
	v_dual_cndmask_b32 v73, v9, v8 :: v_dual_cndmask_b32 v72, v4, v10
.LBB0_4:                                ;   in Loop: Header=BB0_2 Depth=1
	s_and_not1_saveexec_b32 s2, s3
	s_cbranch_execz .LBB0_6
; %bb.5:                                ;   in Loop: Header=BB0_2 Depth=1
	v_cvt_f32_u32_e32 v4, s24
	s_sub_i32 s3, 0, s24
	v_mov_b32_e32 v73, v3
	s_delay_alu instid0(VALU_DEP_2) | instskip(SKIP_2) | instid1(VALU_DEP_1)
	v_rcp_iflag_f32_e32 v4, v4
	s_waitcnt_depctr 0xfff
	v_mul_f32_e32 v4, 0x4f7ffffe, v4
	v_cvt_u32_f32_e32 v4, v4
	s_delay_alu instid0(VALU_DEP_1) | instskip(NEXT) | instid1(VALU_DEP_1)
	v_mul_lo_u32 v7, s3, v4
	v_mul_hi_u32 v7, v4, v7
	s_delay_alu instid0(VALU_DEP_1) | instskip(NEXT) | instid1(VALU_DEP_1)
	v_add_nc_u32_e32 v4, v4, v7
	v_mul_hi_u32 v4, v5, v4
	s_delay_alu instid0(VALU_DEP_1) | instskip(SKIP_1) | instid1(VALU_DEP_2)
	v_mul_lo_u32 v7, v4, s24
	v_add_nc_u32_e32 v8, 1, v4
	v_sub_nc_u32_e32 v7, v5, v7
	s_delay_alu instid0(VALU_DEP_1) | instskip(SKIP_1) | instid1(VALU_DEP_2)
	v_subrev_nc_u32_e32 v9, s24, v7
	v_cmp_le_u32_e32 vcc_lo, s24, v7
	v_dual_cndmask_b32 v7, v7, v9 :: v_dual_cndmask_b32 v4, v4, v8
	s_delay_alu instid0(VALU_DEP_1) | instskip(NEXT) | instid1(VALU_DEP_2)
	v_cmp_le_u32_e32 vcc_lo, s24, v7
	v_add_nc_u32_e32 v8, 1, v4
	s_delay_alu instid0(VALU_DEP_1)
	v_cndmask_b32_e32 v72, v4, v8, vcc_lo
.LBB0_6:                                ;   in Loop: Header=BB0_2 Depth=1
	s_or_b32 exec_lo, exec_lo, s2
	s_delay_alu instid0(VALU_DEP_1) | instskip(NEXT) | instid1(VALU_DEP_2)
	v_mul_lo_u32 v4, v73, s24
	v_mul_lo_u32 v9, v72, s25
	s_load_b64 s[2:3], s[14:15], 0x0
	v_mad_u64_u32 v[7:8], null, v72, s24, 0
	s_load_b64 s[24:25], s[12:13], 0x0
	s_add_u32 s22, s22, 1
	s_addc_u32 s23, s23, 0
	s_add_u32 s12, s12, 8
	s_addc_u32 s13, s13, 0
	s_add_u32 s14, s14, 8
	s_delay_alu instid0(VALU_DEP_1) | instskip(SKIP_3) | instid1(VALU_DEP_2)
	v_add3_u32 v4, v8, v9, v4
	v_sub_co_u32 v8, vcc_lo, v5, v7
	s_addc_u32 s15, s15, 0
	s_add_u32 s20, s20, 8
	v_sub_co_ci_u32_e32 v6, vcc_lo, v6, v4, vcc_lo
	s_addc_u32 s21, s21, 0
	s_waitcnt lgkmcnt(0)
	s_delay_alu instid0(VALU_DEP_1)
	v_mul_lo_u32 v9, s2, v6
	v_mul_lo_u32 v10, s3, v8
	v_mad_u64_u32 v[4:5], null, s2, v8, v[1:2]
	v_mul_lo_u32 v11, s24, v6
	v_mul_lo_u32 v12, s25, v8
	v_mad_u64_u32 v[6:7], null, s24, v8, v[68:69]
	v_cmp_ge_u64_e64 s2, s[22:23], s[10:11]
	v_add3_u32 v2, v10, v5, v9
	s_delay_alu instid0(VALU_DEP_3) | instskip(NEXT) | instid1(VALU_DEP_4)
	v_dual_mov_b32 v1, v4 :: v_dual_mov_b32 v68, v6
	v_add3_u32 v69, v12, v7, v11
	s_delay_alu instid0(VALU_DEP_4)
	s_and_b32 vcc_lo, exec_lo, s2
	s_cbranch_vccnz .LBB0_9
; %bb.7:                                ;   in Loop: Header=BB0_2 Depth=1
	v_dual_mov_b32 v5, v72 :: v_dual_mov_b32 v6, v73
	s_branch .LBB0_2
.LBB0_8:
	v_dual_mov_b32 v69, v2 :: v_dual_mov_b32 v68, v1
	v_dual_mov_b32 v73, v6 :: v_dual_mov_b32 v72, v5
.LBB0_9:
	s_load_b64 s[0:1], s[0:1], 0x28
	v_mul_hi_u32 v3, 0x1ac5702, v0
	s_lshl_b64 s[10:11], s[10:11], 3
                                        ; implicit-def: $vgpr70
                                        ; implicit-def: $vgpr4_vgpr5
	s_delay_alu instid0(SALU_CYCLE_1) | instskip(SKIP_4) | instid1(VALU_DEP_1)
	s_add_u32 s2, s18, s10
	s_addc_u32 s3, s19, s11
	s_waitcnt lgkmcnt(0)
	v_cmp_gt_u64_e32 vcc_lo, s[0:1], v[72:73]
	v_cmp_le_u64_e64 s0, s[0:1], v[72:73]
	s_and_saveexec_b32 s1, s0
	s_delay_alu instid0(SALU_CYCLE_1)
	s_xor_b32 s0, exec_lo, s1
; %bb.10:
	v_mul_u32_u24_e32 v1, 0x99, v3
	v_mov_b32_e32 v71, 0
                                        ; implicit-def: $vgpr3
	s_delay_alu instid0(VALU_DEP_2) | instskip(NEXT) | instid1(VALU_DEP_1)
	v_sub_nc_u32_e32 v70, v0, v1
                                        ; implicit-def: $vgpr0
                                        ; implicit-def: $vgpr1_vgpr2
	v_dual_mov_b32 v4, v70 :: v_dual_mov_b32 v5, v71
; %bb.11:
	s_or_saveexec_b32 s1, s0
	s_load_b64 s[2:3], s[2:3], 0x0
	s_xor_b32 exec_lo, exec_lo, s1
	s_cbranch_execz .LBB0_15
; %bb.12:
	s_add_u32 s10, s16, s10
	s_addc_u32 s11, s17, s11
	v_lshlrev_b64 v[1:2], 4, v[1:2]
	s_load_b64 s[10:11], s[10:11], 0x0
	v_mov_b32_e32 v71, 0
	s_waitcnt lgkmcnt(0)
	v_mul_lo_u32 v6, s11, v72
	v_mul_lo_u32 v7, s10, v73
	v_mad_u64_u32 v[4:5], null, s10, v72, 0
	s_delay_alu instid0(VALU_DEP_1) | instskip(SKIP_1) | instid1(VALU_DEP_2)
	v_add3_u32 v5, v5, v7, v6
	v_mul_u32_u24_e32 v6, 0x99, v3
	v_lshlrev_b64 v[3:4], 4, v[4:5]
	s_delay_alu instid0(VALU_DEP_2) | instskip(NEXT) | instid1(VALU_DEP_1)
	v_sub_nc_u32_e32 v70, v0, v6
	v_lshlrev_b32_e32 v54, 4, v70
	s_delay_alu instid0(VALU_DEP_3) | instskip(NEXT) | instid1(VALU_DEP_1)
	v_add_co_u32 v0, s0, s4, v3
	v_add_co_ci_u32_e64 v3, s0, s5, v4, s0
	s_mov_b32 s4, exec_lo
	s_delay_alu instid0(VALU_DEP_2) | instskip(NEXT) | instid1(VALU_DEP_1)
	v_add_co_u32 v0, s0, v0, v1
	v_add_co_ci_u32_e64 v1, s0, v3, v2, s0
	s_delay_alu instid0(VALU_DEP_2) | instskip(NEXT) | instid1(VALU_DEP_1)
	v_add_co_u32 v2, s0, v0, v54
	v_add_co_ci_u32_e64 v3, s0, 0, v1, s0
	s_clause 0x1
	global_load_b128 v[6:9], v[2:3], off
	global_load_b128 v[10:13], v[2:3], off offset:2448
	v_add_co_u32 v4, s0, 0x1000, v2
	s_delay_alu instid0(VALU_DEP_1) | instskip(SKIP_1) | instid1(VALU_DEP_1)
	v_add_co_ci_u32_e64 v5, s0, 0, v3, s0
	v_add_co_u32 v26, s0, 0x2000, v2
	v_add_co_ci_u32_e64 v27, s0, 0, v3, s0
	v_add_co_u32 v30, s0, 0x3000, v2
	s_delay_alu instid0(VALU_DEP_1) | instskip(SKIP_1) | instid1(VALU_DEP_1)
	v_add_co_ci_u32_e64 v31, s0, 0, v3, s0
	v_add_co_u32 v38, s0, 0x4000, v2
	v_add_co_ci_u32_e64 v39, s0, 0, v3, s0
	v_add_co_u32 v46, s0, 0x5000, v2
	s_delay_alu instid0(VALU_DEP_1) | instskip(SKIP_1) | instid1(VALU_DEP_1)
	v_add_co_ci_u32_e64 v47, s0, 0, v3, s0
	v_add_co_u32 v2, s0, 0x6000, v2
	v_add_co_ci_u32_e64 v3, s0, 0, v3, s0
	s_clause 0x9
	global_load_b128 v[14:17], v[4:5], off offset:800
	global_load_b128 v[18:21], v[4:5], off offset:3248
	;; [unrolled: 1-line block ×10, first 2 shown]
	v_mov_b32_e32 v4, v70
	v_dual_mov_b32 v5, v71 :: v_dual_add_nc_u32 v2, 0, v54
	s_waitcnt vmcnt(11)
	ds_store_b128 v2, v[6:9]
	s_waitcnt vmcnt(10)
	ds_store_b128 v2, v[10:13] offset:2448
	s_waitcnt vmcnt(9)
	ds_store_b128 v2, v[14:17] offset:4896
	;; [unrolled: 2-line block ×11, first 2 shown]
	v_cmpx_eq_u32_e32 0x98, v70
	s_cbranch_execz .LBB0_14
; %bb.13:
	v_add_co_u32 v0, s0, 0x7000, v0
	s_delay_alu instid0(VALU_DEP_1)
	v_add_co_ci_u32_e64 v1, s0, 0, v1, s0
	v_mov_b32_e32 v4, 0x98
	v_dual_mov_b32 v5, 0 :: v_dual_mov_b32 v70, 0x98
	global_load_b128 v[0:3], v[0:1], off offset:704
	s_waitcnt vmcnt(0)
	ds_store_b128 v71, v[0:3] offset:29376
.LBB0_14:
	s_or_b32 exec_lo, exec_lo, s4
.LBB0_15:
	s_delay_alu instid0(SALU_CYCLE_1)
	s_or_b32 exec_lo, exec_lo, s1
	v_lshlrev_b32_e32 v0, 4, v70
	s_waitcnt lgkmcnt(0)
	s_barrier
	buffer_gl0_inv
	v_lshlrev_b64 v[109:110], 4, v[4:5]
	v_add_nc_u32_e32 v150, 0, v0
	v_sub_nc_u32_e32 v10, 0, v0
	s_add_u32 s1, s8, 0x71b0
	s_addc_u32 s4, s9, 0
	s_mov_b32 s5, exec_lo
	ds_load_b64 v[6:7], v150
	ds_load_b64 v[8:9], v10 offset:29376
	s_waitcnt lgkmcnt(0)
	v_add_f64 v[0:1], v[6:7], v[8:9]
	v_add_f64 v[2:3], v[6:7], -v[8:9]
	v_cmpx_ne_u32_e32 0, v70
	s_xor_b32 s5, exec_lo, s5
	s_cbranch_execz .LBB0_17
; %bb.16:
	v_add_co_u32 v0, s0, s1, v109
	s_delay_alu instid0(VALU_DEP_1)
	v_add_co_ci_u32_e64 v1, s0, s4, v110, s0
	v_add_f64 v[13:14], v[6:7], v[8:9]
	v_add_f64 v[8:9], v[6:7], -v[8:9]
	global_load_b128 v[2:5], v[0:1], off
	ds_load_b64 v[0:1], v10 offset:29384
	ds_load_b64 v[11:12], v150 offset:8
	s_waitcnt lgkmcnt(0)
	v_add_f64 v[6:7], v[0:1], v[11:12]
	v_add_f64 v[0:1], v[11:12], -v[0:1]
	s_waitcnt vmcnt(0)
	v_fma_f64 v[11:12], v[8:9], v[4:5], v[13:14]
	v_fma_f64 v[13:14], -v[8:9], v[4:5], v[13:14]
	s_delay_alu instid0(VALU_DEP_3) | instskip(SKIP_1) | instid1(VALU_DEP_4)
	v_fma_f64 v[15:16], v[6:7], v[4:5], -v[0:1]
	v_fma_f64 v[17:18], v[6:7], v[4:5], v[0:1]
	v_fma_f64 v[0:1], -v[6:7], v[2:3], v[11:12]
	s_delay_alu instid0(VALU_DEP_4) | instskip(NEXT) | instid1(VALU_DEP_4)
	v_fma_f64 v[4:5], v[6:7], v[2:3], v[13:14]
	v_fma_f64 v[6:7], v[8:9], v[2:3], v[15:16]
	s_delay_alu instid0(VALU_DEP_4)
	v_fma_f64 v[2:3], v[8:9], v[2:3], v[17:18]
	ds_store_b128 v10, v[4:7] offset:29376
.LBB0_17:
	s_and_not1_saveexec_b32 s0, s5
	s_cbranch_execz .LBB0_19
; %bb.18:
	v_mov_b32_e32 v8, 0
	ds_load_b128 v[4:7], v8 offset:14688
	s_waitcnt lgkmcnt(0)
	v_add_f64 v[4:5], v[4:5], v[4:5]
	v_mul_f64 v[6:7], v[6:7], -2.0
	ds_store_b128 v8, v[4:7] offset:14688
.LBB0_19:
	s_or_b32 exec_lo, exec_lo, s0
	v_mov_b32_e32 v71, 0
	ds_store_b128 v150, v[0:3]
	s_mov_b32 s33, exec_lo
	v_lshlrev_b64 v[4:5], 4, v[70:71]
	s_delay_alu instid0(VALU_DEP_1) | instskip(NEXT) | instid1(VALU_DEP_1)
	v_add_co_u32 v23, s0, s1, v4
	v_add_co_ci_u32_e64 v24, s0, s4, v5, s0
	s_delay_alu instid0(VALU_DEP_2)
	v_add_co_u32 v8, s0, 0x1000, v23
	global_load_b128 v[4:7], v[23:24], off offset:2448
	v_add_co_ci_u32_e64 v9, s0, 0, v24, s0
	global_load_b128 v[11:14], v[8:9], off offset:800
	ds_load_b128 v[0:3], v150 offset:2448
	ds_load_b128 v[15:18], v10 offset:26928
	global_load_b128 v[19:22], v[8:9], off offset:3248
	s_waitcnt lgkmcnt(0)
	v_add_f64 v[25:26], v[0:1], v[15:16]
	v_add_f64 v[27:28], v[17:18], v[2:3]
	v_add_f64 v[15:16], v[0:1], -v[15:16]
	v_add_f64 v[0:1], v[2:3], -v[17:18]
	s_waitcnt vmcnt(2)
	s_delay_alu instid0(VALU_DEP_2) | instskip(NEXT) | instid1(VALU_DEP_2)
	v_fma_f64 v[2:3], v[15:16], v[6:7], v[25:26]
	v_fma_f64 v[8:9], v[27:28], v[6:7], v[0:1]
	v_fma_f64 v[17:18], -v[15:16], v[6:7], v[25:26]
	v_fma_f64 v[25:26], v[27:28], v[6:7], -v[0:1]
	s_delay_alu instid0(VALU_DEP_4) | instskip(NEXT) | instid1(VALU_DEP_4)
	v_fma_f64 v[0:1], -v[27:28], v[4:5], v[2:3]
	v_fma_f64 v[2:3], v[15:16], v[4:5], v[8:9]
	s_delay_alu instid0(VALU_DEP_4) | instskip(NEXT) | instid1(VALU_DEP_4)
	v_fma_f64 v[6:7], v[27:28], v[4:5], v[17:18]
	v_fma_f64 v[8:9], v[15:16], v[4:5], v[25:26]
	ds_store_b128 v150, v[0:3] offset:2448
	ds_store_b128 v10, v[6:9] offset:26928
	ds_load_b128 v[0:3], v150 offset:4896
	ds_load_b128 v[4:7], v10 offset:24480
	v_add_co_u32 v8, s0, 0x2000, v23
	s_delay_alu instid0(VALU_DEP_1)
	v_add_co_ci_u32_e64 v9, s0, 0, v24, s0
	global_load_b128 v[15:18], v[8:9], off offset:1600
	s_waitcnt lgkmcnt(0)
	v_add_f64 v[23:24], v[0:1], v[4:5]
	v_add_f64 v[25:26], v[6:7], v[2:3]
	v_add_f64 v[27:28], v[0:1], -v[4:5]
	v_add_f64 v[0:1], v[2:3], -v[6:7]
	s_waitcnt vmcnt(2)
	s_delay_alu instid0(VALU_DEP_2) | instskip(NEXT) | instid1(VALU_DEP_2)
	v_fma_f64 v[2:3], v[27:28], v[13:14], v[23:24]
	v_fma_f64 v[4:5], v[25:26], v[13:14], v[0:1]
	v_fma_f64 v[6:7], -v[27:28], v[13:14], v[23:24]
	v_fma_f64 v[13:14], v[25:26], v[13:14], -v[0:1]
	s_delay_alu instid0(VALU_DEP_4) | instskip(NEXT) | instid1(VALU_DEP_4)
	v_fma_f64 v[0:1], -v[25:26], v[11:12], v[2:3]
	v_fma_f64 v[2:3], v[27:28], v[11:12], v[4:5]
	s_delay_alu instid0(VALU_DEP_4) | instskip(NEXT) | instid1(VALU_DEP_4)
	v_fma_f64 v[4:5], v[25:26], v[11:12], v[6:7]
	v_fma_f64 v[6:7], v[27:28], v[11:12], v[13:14]
	ds_store_b128 v150, v[0:3] offset:4896
	ds_store_b128 v10, v[4:7] offset:24480
	ds_load_b128 v[0:3], v150 offset:7344
	ds_load_b128 v[4:7], v10 offset:22032
	global_load_b128 v[11:14], v[8:9], off offset:4048
	s_waitcnt lgkmcnt(0)
	v_add_f64 v[8:9], v[0:1], v[4:5]
	v_add_f64 v[23:24], v[6:7], v[2:3]
	v_add_f64 v[25:26], v[0:1], -v[4:5]
	v_add_f64 v[0:1], v[2:3], -v[6:7]
	s_waitcnt vmcnt(2)
	s_delay_alu instid0(VALU_DEP_2) | instskip(NEXT) | instid1(VALU_DEP_2)
	v_fma_f64 v[2:3], v[25:26], v[21:22], v[8:9]
	v_fma_f64 v[4:5], v[23:24], v[21:22], v[0:1]
	v_fma_f64 v[6:7], -v[25:26], v[21:22], v[8:9]
	v_fma_f64 v[8:9], v[23:24], v[21:22], -v[0:1]
	s_delay_alu instid0(VALU_DEP_4) | instskip(NEXT) | instid1(VALU_DEP_4)
	v_fma_f64 v[0:1], -v[23:24], v[19:20], v[2:3]
	v_fma_f64 v[2:3], v[25:26], v[19:20], v[4:5]
	s_delay_alu instid0(VALU_DEP_4) | instskip(NEXT) | instid1(VALU_DEP_4)
	v_fma_f64 v[4:5], v[23:24], v[19:20], v[6:7]
	v_fma_f64 v[6:7], v[25:26], v[19:20], v[8:9]
	ds_store_b128 v150, v[0:3] offset:7344
	ds_store_b128 v10, v[4:7] offset:22032
	ds_load_b128 v[0:3], v150 offset:9792
	ds_load_b128 v[4:7], v10 offset:19584
	s_waitcnt lgkmcnt(0)
	v_add_f64 v[8:9], v[0:1], v[4:5]
	v_add_f64 v[19:20], v[6:7], v[2:3]
	v_add_f64 v[21:22], v[0:1], -v[4:5]
	v_add_f64 v[0:1], v[2:3], -v[6:7]
	s_waitcnt vmcnt(1)
	s_delay_alu instid0(VALU_DEP_2) | instskip(NEXT) | instid1(VALU_DEP_2)
	v_fma_f64 v[2:3], v[21:22], v[17:18], v[8:9]
	v_fma_f64 v[4:5], v[19:20], v[17:18], v[0:1]
	v_fma_f64 v[6:7], -v[21:22], v[17:18], v[8:9]
	v_fma_f64 v[8:9], v[19:20], v[17:18], -v[0:1]
	s_delay_alu instid0(VALU_DEP_4) | instskip(NEXT) | instid1(VALU_DEP_4)
	v_fma_f64 v[0:1], -v[19:20], v[15:16], v[2:3]
	v_fma_f64 v[2:3], v[21:22], v[15:16], v[4:5]
	s_delay_alu instid0(VALU_DEP_4) | instskip(NEXT) | instid1(VALU_DEP_4)
	v_fma_f64 v[4:5], v[19:20], v[15:16], v[6:7]
	v_fma_f64 v[6:7], v[21:22], v[15:16], v[8:9]
	ds_store_b128 v150, v[0:3] offset:9792
	ds_store_b128 v10, v[4:7] offset:19584
	ds_load_b128 v[0:3], v150 offset:12240
	ds_load_b128 v[4:7], v10 offset:17136
	s_waitcnt lgkmcnt(0)
	v_add_f64 v[8:9], v[0:1], v[4:5]
	v_add_f64 v[15:16], v[6:7], v[2:3]
	v_add_f64 v[17:18], v[0:1], -v[4:5]
	v_add_f64 v[0:1], v[2:3], -v[6:7]
	s_waitcnt vmcnt(0)
	s_delay_alu instid0(VALU_DEP_2) | instskip(NEXT) | instid1(VALU_DEP_2)
	v_fma_f64 v[2:3], v[17:18], v[13:14], v[8:9]
	v_fma_f64 v[4:5], v[15:16], v[13:14], v[0:1]
	v_fma_f64 v[6:7], -v[17:18], v[13:14], v[8:9]
	v_fma_f64 v[8:9], v[15:16], v[13:14], -v[0:1]
	s_delay_alu instid0(VALU_DEP_4) | instskip(NEXT) | instid1(VALU_DEP_4)
	v_fma_f64 v[0:1], -v[15:16], v[11:12], v[2:3]
	v_fma_f64 v[2:3], v[17:18], v[11:12], v[4:5]
	s_delay_alu instid0(VALU_DEP_4) | instskip(NEXT) | instid1(VALU_DEP_4)
	v_fma_f64 v[4:5], v[15:16], v[11:12], v[6:7]
	v_fma_f64 v[6:7], v[17:18], v[11:12], v[8:9]
	ds_store_b128 v150, v[0:3] offset:12240
	ds_store_b128 v10, v[4:7] offset:17136
	s_waitcnt lgkmcnt(0)
	s_barrier
	buffer_gl0_inv
	s_barrier
	buffer_gl0_inv
	ds_load_b128 v[8:11], v150
	ds_load_b128 v[36:39], v150 offset:1728
	ds_load_b128 v[40:43], v150 offset:3456
	;; [unrolled: 1-line block ×16, first 2 shown]
	s_waitcnt lgkmcnt(0)
	s_barrier
	buffer_gl0_inv
	v_cmpx_gt_u32_e32 0x6c, v70
	s_cbranch_execz .LBB0_21
; %bb.20:
	v_add_f64 v[76:77], v[10:11], v[38:39]
	v_add_f64 v[78:79], v[8:9], v[36:37]
	scratch_store_b64 off, v[109:110], off  ; 8-byte Folded Spill
	v_add_f64 v[108:109], v[38:39], v[2:3]
	v_add_f64 v[122:123], v[38:39], -v[2:3]
	s_mov_b32 s10, 0x6c9a05f6
	s_mov_b32 s4, 0x75d4884
	s_mov_b32 s11, 0x3fe9895b
	s_mov_b32 s5, 0x3fe7a5f6
	s_mov_b32 s45, 0xbfe9895b
	s_mov_b32 s44, s10
	v_add_f64 v[82:83], v[62:63], v[34:35]
	v_add_f64 v[84:85], v[62:63], -v[34:35]
	v_add_f64 v[151:152], v[42:43], v[6:7]
	v_add_f64 v[148:149], v[42:43], -v[6:7]
	s_mov_b32 s16, 0x3259b75e
	s_mov_b32 s34, 0xeb564b22
	;; [unrolled: 1-line block ×23, first 2 shown]
	v_add_f64 v[76:77], v[76:77], v[42:43]
	v_add_f64 v[78:79], v[78:79], v[40:41]
	s_mov_b32 s21, 0x3fedd6d0
	s_mov_b32 s29, 0xbfe58eea
	v_mul_f64 v[120:121], v[122:123], s[44:45]
	s_mov_b32 s31, 0x3fe0d888
	s_mov_b32 s27, 0xbfd71e95
	s_mov_b32 s25, 0x3fc7851a
	s_mov_b32 s55, 0xbfeec746
	s_mov_b32 s43, 0x3fe58eea
	s_mov_b32 s41, 0xbfe0d888
	s_mov_b32 s37, 0xbfc7851a
	s_mov_b32 s54, s52
	s_mov_b32 s42, s28
	s_mov_b32 s40, s30
	s_mov_b32 s36, s24
	v_add_f64 v[88:89], v[66:67], v[30:31]
	v_add_f64 v[92:93], v[58:59], v[26:27]
	v_add_f64 v[86:87], v[56:57], -v[24:25]
	v_add_f64 v[146:147], v[46:47], v[14:15]
	v_mul_f64 v[110:111], v[108:109], s[14:15]
	v_mul_f64 v[106:107], v[108:109], s[12:13]
	;; [unrolled: 1-line block ×11, first 2 shown]
	s_mov_b32 s51, 0x3fefdd0d
	s_mov_b32 s49, 0x3feca52d
	;; [unrolled: 1-line block ×6, first 2 shown]
	v_add_f64 v[80:81], v[64:65], -v[28:29]
	v_add_f64 v[76:77], v[76:77], v[46:47]
	v_add_f64 v[78:79], v[78:79], v[44:45]
	v_add_f64 v[46:47], v[46:47], -v[14:15]
	v_add_f64 v[96:97], v[54:55], v[22:23]
	v_add_f64 v[90:91], v[52:53], -v[20:21]
	v_add_f64 v[98:99], v[50:51], v[18:19]
	v_mul_f64 v[128:129], v[151:152], s[20:21]
	v_mul_f64 v[130:131], v[148:149], s[38:39]
	;; [unrolled: 1-line block ×19, first 2 shown]
	v_add_f64 v[94:95], v[48:49], -v[16:17]
	v_lshl_add_u32 v71, v70, 8, v150
	v_add_f64 v[76:77], v[76:77], v[50:51]
	v_add_f64 v[78:79], v[78:79], v[48:49]
	v_add_f64 v[50:51], v[50:51], -v[18:19]
	v_add_f64 v[48:49], v[48:49], v[16:17]
	v_mul_f64 v[134:135], v[46:47], s[34:35]
	v_mul_f64 v[163:164], v[46:47], s[42:43]
	;; [unrolled: 1-line block ×6, first 2 shown]
	v_add_f64 v[76:77], v[76:77], v[54:55]
	v_add_f64 v[78:79], v[78:79], v[52:53]
	v_add_f64 v[52:53], v[52:53], v[20:21]
	v_add_f64 v[54:55], v[54:55], -v[22:23]
	s_delay_alu instid0(VALU_DEP_4) | instskip(NEXT) | instid1(VALU_DEP_4)
	v_add_f64 v[76:77], v[76:77], v[58:59]
	v_add_f64 v[78:79], v[78:79], v[56:57]
	;; [unrolled: 1-line block ×3, first 2 shown]
	v_add_f64 v[58:59], v[58:59], -v[26:27]
	s_delay_alu instid0(VALU_DEP_4) | instskip(NEXT) | instid1(VALU_DEP_4)
	v_add_f64 v[100:101], v[76:77], v[66:67]
	v_add_f64 v[102:103], v[78:79], v[64:65]
	v_add_f64 v[76:77], v[60:61], -v[32:33]
	v_add_f64 v[78:79], v[60:61], v[32:33]
	v_add_f64 v[66:67], v[66:67], -v[30:31]
	v_add_f64 v[64:65], v[64:65], v[28:29]
	v_add_f64 v[104:105], v[100:101], v[62:63]
	;; [unrolled: 1-line block ×3, first 2 shown]
	v_add_f64 v[100:101], v[36:37], -v[0:1]
	v_add_f64 v[36:37], v[36:37], v[0:1]
	v_add_f64 v[62:63], v[40:41], -v[4:5]
	v_add_f64 v[40:41], v[40:41], v[4:5]
	;; [unrolled: 2-line block ×3, first 2 shown]
	v_add_f64 v[144:145], v[104:105], v[34:35]
	v_add_f64 v[153:154], v[102:103], v[32:33]
	v_mul_f64 v[34:35], v[108:109], s[4:5]
	v_mul_f64 v[104:105], v[108:109], s[0:1]
	;; [unrolled: 1-line block ×5, first 2 shown]
	v_fma_f64 v[205:206], v[36:37], s[0:1], v[120:121]
	v_fma_f64 v[191:192], v[100:101], s[24:25], v[110:111]
	;; [unrolled: 1-line block ×10, first 2 shown]
	v_fma_f64 v[124:125], v[36:37], s[12:13], -v[124:125]
	v_fma_f64 v[120:121], v[36:37], s[0:1], -v[120:121]
	v_fma_f64 v[207:208], v[36:37], s[46:47], v[118:119]
	v_fma_f64 v[118:119], v[36:37], s[46:47], -v[118:119]
	v_fma_f64 v[209:210], v[36:37], s[16:17], v[116:117]
	;; [unrolled: 2-line block ×5, first 2 shown]
	v_mul_f64 v[122:123], v[46:47], s[40:41]
	v_fma_f64 v[217:218], v[40:41], s[20:21], v[130:131]
	v_fma_f64 v[219:220], v[60:61], s[30:31], v[132:133]
	;; [unrolled: 1-line block ×7, first 2 shown]
	v_fma_f64 v[138:139], v[40:41], s[18:19], -v[138:139]
	v_fma_f64 v[140:141], v[60:61], s[34:35], v[140:141]
	v_add_f64 v[155:156], v[144:145], v[30:31]
	v_add_f64 v[153:154], v[153:154], v[28:29]
	v_mul_f64 v[30:31], v[148:149], s[52:53]
	v_mul_f64 v[144:145], v[146:147], s[20:21]
	;; [unrolled: 1-line block ×5, first 2 shown]
	v_fma_f64 v[195:196], v[100:101], s[10:11], v[104:105]
	v_fma_f64 v[104:105], v[100:101], s[44:45], v[104:105]
	;; [unrolled: 1-line block ×5, first 2 shown]
	v_add_f64 v[205:206], v[8:9], v[205:206]
	v_mul_f64 v[46:47], v[46:47], s[22:23]
	v_fma_f64 v[227:228], v[62:63], s[54:55], v[142:143]
	v_fma_f64 v[142:143], v[62:63], s[52:53], v[142:143]
	;; [unrolled: 1-line block ×6, first 2 shown]
	v_fma_f64 v[243:244], v[40:41], s[0:1], -v[173:174]
	v_fma_f64 v[245:246], v[60:61], s[24:25], v[175:176]
	v_fma_f64 v[251:252], v[60:61], s[44:45], v[181:182]
	;; [unrolled: 1-line block ×10, first 2 shown]
	v_add_f64 v[191:192], v[10:11], v[191:192]
	v_add_f64 v[110:111], v[10:11], v[110:111]
	;; [unrolled: 1-line block ×9, first 2 shown]
	v_fma_f64 v[153:154], v[100:101], s[42:43], v[34:35]
	v_fma_f64 v[34:35], v[100:101], s[28:29], v[34:35]
	;; [unrolled: 1-line block ×5, first 2 shown]
	v_fma_f64 v[126:127], v[36:37], s[14:15], -v[126:127]
	v_fma_f64 v[36:37], v[36:37], s[20:21], -v[108:109]
	v_fma_f64 v[229:230], v[40:41], s[46:47], v[30:31]
	v_fma_f64 v[108:109], v[62:63], s[26:27], v[128:129]
	;; [unrolled: 1-line block ×4, first 2 shown]
	v_add_f64 v[195:196], v[10:11], v[195:196]
	v_add_f64 v[104:105], v[10:11], v[104:105]
	;; [unrolled: 1-line block ×11, first 2 shown]
	v_fma_f64 v[130:131], v[40:41], s[20:21], -v[130:131]
	v_fma_f64 v[237:238], v[40:41], s[14:15], -v[167:168]
	v_fma_f64 v[249:250], v[40:41], s[16:17], -v[179:180]
	v_fma_f64 v[167:168], v[40:41], s[14:15], v[167:168]
	v_fma_f64 v[173:174], v[40:41], s[0:1], v[173:174]
	;; [unrolled: 1-line block ×4, first 2 shown]
	v_fma_f64 v[134:135], v[44:45], s[16:17], -v[134:135]
	v_add_f64 v[197:198], v[10:11], v[197:198]
	v_add_f64 v[102:103], v[10:11], v[102:103]
	v_add_f64 v[199:200], v[10:11], v[199:200]
	v_add_f64 v[42:43], v[10:11], v[42:43]
	v_add_f64 v[201:202], v[10:11], v[201:202]
	v_add_f64 v[38:39], v[10:11], v[38:39]
	v_add_f64 v[22:23], v[26:27], v[22:23]
	v_add_f64 v[20:21], v[24:25], v[20:21]
	v_fma_f64 v[24:25], v[40:41], s[46:47], -v[30:31]
	v_add_f64 v[34:35], v[10:11], v[34:35]
	v_fma_f64 v[26:27], v[60:61], s[26:27], v[144:145]
	v_fma_f64 v[30:31], v[62:63], s[30:31], v[157:158]
	;; [unrolled: 1-line block ×6, first 2 shown]
	v_fma_f64 v[146:147], v[40:41], s[4:5], -v[148:149]
	v_add_f64 v[100:101], v[8:9], v[100:101]
	v_add_f64 v[126:127], v[8:9], v[126:127]
	;; [unrolled: 1-line block ×4, first 2 shown]
	v_fma_f64 v[144:145], v[40:41], s[12:13], -v[159:160]
	v_fma_f64 v[159:160], v[40:41], s[12:13], v[159:160]
	v_fma_f64 v[40:41], v[40:41], s[4:5], v[148:149]
	;; [unrolled: 1-line block ×3, first 2 shown]
	v_fma_f64 v[122:123], v[44:45], s[12:13], -v[122:123]
	v_add_f64 v[153:154], v[10:11], v[153:154]
	v_add_f64 v[155:156], v[10:11], v[155:156]
	;; [unrolled: 1-line block ×3, first 2 shown]
	v_fma_f64 v[32:33], v[44:45], s[46:47], -v[183:184]
	v_fma_f64 v[36:37], v[44:45], s[46:47], v[183:184]
	v_fma_f64 v[183:184], v[44:45], s[14:15], -v[185:186]
	v_fma_f64 v[185:186], v[44:45], s[14:15], v[185:186]
	v_add_f64 v[108:109], v[108:109], v[191:192]
	v_add_f64 v[110:111], v[128:129], v[110:111]
	;; [unrolled: 1-line block ×7, first 2 shown]
	v_mul_f64 v[227:228], v[98:99], s[0:1]
	v_mul_f64 v[229:230], v[50:51], s[10:11]
	v_add_f64 v[104:105], v[142:143], v[104:105]
	v_add_f64 v[114:115], v[243:244], v[114:115]
	;; [unrolled: 1-line block ×4, first 2 shown]
	v_fma_f64 v[20:21], v[44:45], s[20:21], v[28:29]
	v_add_f64 v[34:35], v[247:248], v[34:35]
	v_mul_f64 v[247:248], v[50:51], s[40:41]
	v_fma_f64 v[22:23], v[44:45], s[20:21], -v[28:29]
	v_fma_f64 v[28:29], v[44:45], s[4:5], -v[163:164]
	v_fma_f64 v[163:164], v[44:45], s[4:5], v[163:164]
	v_mul_f64 v[243:244], v[98:99], s[12:13]
	v_mul_f64 v[191:192], v[96:97], s[0:1]
	v_mul_f64 v[142:143], v[96:97], s[20:21]
	v_add_f64 v[100:101], v[217:218], v[100:101]
	v_mul_f64 v[217:218], v[54:55], s[44:45]
	v_add_f64 v[8:9], v[146:147], v[8:9]
	v_mul_f64 v[146:147], v[54:55], s[50:51]
	;; [unrolled: 2-line block ×3, first 2 shown]
	v_add_f64 v[116:117], v[237:238], v[116:117]
	v_add_f64 v[38:39], v[241:242], v[38:39]
	;; [unrolled: 1-line block ×3, first 2 shown]
	v_mul_f64 v[209:210], v[58:59], s[28:29]
	v_mul_f64 v[128:129], v[92:93], s[18:19]
	v_add_f64 v[10:11], v[253:254], v[10:11]
	v_mul_f64 v[253:254], v[96:97], s[16:17]
	v_add_f64 v[126:127], v[130:131], v[126:127]
	v_add_f64 v[118:119], v[144:145], v[118:119]
	v_mul_f64 v[144:145], v[58:59], s[36:37]
	v_add_f64 v[108:109], v[219:220], v[108:109]
	v_fma_f64 v[219:220], v[94:95], s[28:29], v[189:190]
	v_add_f64 v[110:111], v[132:133], v[110:111]
	v_fma_f64 v[189:190], v[94:95], s[42:43], v[189:190]
	v_add_f64 v[193:194], v[225:226], v[193:194]
	v_add_f64 v[74:75], v[74:75], v[203:204]
	;; [unrolled: 1-line block ×3, first 2 shown]
	v_fma_f64 v[225:226], v[94:95], s[44:45], v[227:228]
	v_fma_f64 v[203:204], v[48:49], s[0:1], v[229:230]
	;; [unrolled: 1-line block ×3, first 2 shown]
	v_add_f64 v[124:125], v[134:135], v[124:125]
	v_add_f64 v[14:15], v[18:19], v[14:15]
	;; [unrolled: 1-line block ×3, first 2 shown]
	v_fma_f64 v[16:17], v[44:45], s[0:1], -v[187:188]
	v_fma_f64 v[18:19], v[44:45], s[0:1], v[187:188]
	v_fma_f64 v[187:188], v[44:45], s[18:19], -v[46:47]
	v_fma_f64 v[44:45], v[44:45], s[18:19], v[46:47]
	v_mul_f64 v[46:47], v[50:51], s[42:43]
	v_add_f64 v[20:21], v[20:21], v[205:206]
	v_fma_f64 v[205:206], v[48:49], s[12:13], v[247:248]
	v_fma_f64 v[229:230], v[48:49], s[0:1], -v[229:230]
	v_add_f64 v[195:196], v[231:232], v[195:196]
	v_add_f64 v[100:101], v[148:149], v[100:101]
	v_fma_f64 v[231:232], v[94:95], s[30:31], v[243:244]
	v_add_f64 v[26:27], v[26:27], v[104:105]
	v_fma_f64 v[243:244], v[94:95], s[40:41], v[243:244]
	v_add_f64 v[157:158], v[157:158], v[197:198]
	v_mul_f64 v[197:198], v[92:93], s[4:5]
	v_add_f64 v[159:160], v[159:160], v[207:208]
	v_mul_f64 v[207:208], v[98:99], s[18:19]
	;; [unrolled: 2-line block ×3, first 2 shown]
	v_mul_f64 v[104:105], v[98:99], s[20:21]
	v_add_f64 v[32:33], v[32:33], v[116:117]
	v_mul_f64 v[116:117], v[98:99], s[46:47]
	v_add_f64 v[38:39], v[245:246], v[38:39]
	v_fma_f64 v[245:246], v[90:91], s[38:39], v[142:143]
	v_fma_f64 v[142:143], v[90:91], s[26:27], v[142:143]
	v_add_f64 v[114:115], v[183:184], v[114:115]
	v_add_f64 v[108:109], v[219:220], v[108:109]
	v_fma_f64 v[219:220], v[90:91], s[10:11], v[191:192]
	v_add_f64 v[110:111], v[189:190], v[110:111]
	v_fma_f64 v[191:192], v[90:91], s[44:45], v[191:192]
	v_fma_f64 v[183:184], v[56:57], s[4:5], v[209:210]
	v_add_f64 v[42:43], v[235:236], v[42:43]
	v_add_f64 v[193:194], v[225:226], v[193:194]
	v_fma_f64 v[225:226], v[52:53], s[20:21], v[120:121]
	v_add_f64 v[74:75], v[203:204], v[74:75]
	v_add_f64 v[106:107], v[227:228], v[106:107]
	v_fma_f64 v[120:121], v[52:53], s[20:21], -v[120:121]
	v_mul_f64 v[237:238], v[66:67], s[42:43]
	v_add_f64 v[171:172], v[171:172], v[201:202]
	v_add_f64 v[173:174], v[173:174], v[211:212]
	;; [unrolled: 1-line block ×3, first 2 shown]
	v_mul_f64 v[126:127], v[96:97], s[14:15]
	v_fma_f64 v[148:149], v[48:49], s[4:5], v[46:47]
	v_fma_f64 v[46:47], v[48:49], s[4:5], -v[46:47]
	v_add_f64 v[20:21], v[205:206], v[20:21]
	v_fma_f64 v[205:206], v[52:53], s[16:17], v[146:147]
	v_add_f64 v[124:125], v[229:230], v[124:125]
	v_add_f64 v[179:180], v[179:180], v[213:214]
	;; [unrolled: 1-line block ×3, first 2 shown]
	v_fma_f64 v[231:232], v[90:91], s[34:35], v[253:254]
	v_add_f64 v[26:27], v[243:244], v[26:27]
	v_mul_f64 v[243:244], v[98:99], s[14:15]
	v_mul_f64 v[98:99], v[98:99], s[16:17]
	;; [unrolled: 1-line block ×3, first 2 shown]
	v_add_f64 v[22:23], v[22:23], v[24:25]
	v_mul_f64 v[24:25], v[50:51], s[38:39]
	v_fma_f64 v[247:248], v[48:49], s[12:13], -v[247:248]
	v_add_f64 v[28:29], v[28:29], v[118:119]
	v_fma_f64 v[118:119], v[48:49], s[18:19], -v[199:200]
	v_mul_f64 v[189:190], v[96:97], s[18:19]
	v_mul_f64 v[203:204], v[50:51], s[52:53]
	;; [unrolled: 1-line block ×3, first 2 shown]
	v_fma_f64 v[253:254], v[90:91], s[50:51], v[253:254]
	v_add_f64 v[34:35], v[251:252], v[34:35]
	v_add_f64 v[10:11], v[151:152], v[10:11]
	;; [unrolled: 1-line block ×3, first 2 shown]
	v_fma_f64 v[219:220], v[86:87], s[22:23], v[128:129]
	v_add_f64 v[110:111], v[191:192], v[110:111]
	v_fma_f64 v[128:129], v[86:87], s[48:49], v[128:129]
	v_add_f64 v[8:9], v[187:188], v[8:9]
	v_mul_f64 v[221:222], v[88:89], s[46:47]
	v_add_f64 v[30:31], v[30:31], v[102:103]
	v_add_f64 v[74:75], v[225:226], v[74:75]
	v_fma_f64 v[225:226], v[56:57], s[14:15], v[144:145]
	v_fma_f64 v[144:145], v[56:57], s[14:15], -v[144:145]
	v_add_f64 v[106:107], v[142:143], v[106:107]
	v_fma_f64 v[142:143], v[86:87], s[42:43], v[197:198]
	v_mul_f64 v[102:103], v[92:93], s[14:15]
	v_add_f64 v[112:113], v[249:250], v[112:113]
	v_add_f64 v[153:154], v[177:178], v[153:154]
	;; [unrolled: 1-line block ×3, first 2 shown]
	v_fma_f64 v[148:149], v[52:53], s[0:1], v[217:218]
	v_add_f64 v[62:63], v[62:63], v[155:156]
	v_add_f64 v[20:21], v[205:206], v[20:21]
	;; [unrolled: 1-line block ×3, first 2 shown]
	v_mul_f64 v[155:156], v[92:93], s[16:17]
	v_add_f64 v[40:41], v[40:41], v[215:216]
	v_add_f64 v[195:196], v[231:232], v[195:196]
	v_mul_f64 v[215:216], v[58:59], s[50:51]
	v_add_f64 v[46:47], v[46:47], v[122:123]
	v_fma_f64 v[187:188], v[94:95], s[34:35], v[98:99]
	v_mul_f64 v[122:123], v[54:55], s[22:23]
	v_add_f64 v[42:43], v[239:240], v[42:43]
	v_mul_f64 v[239:240], v[92:93], s[12:13]
	v_mul_f64 v[229:230], v[54:55], s[42:43]
	v_add_f64 v[22:23], v[247:248], v[22:23]
	v_mul_f64 v[247:248], v[50:51], s[36:37]
	v_add_f64 v[28:29], v[118:119], v[28:29]
	v_fma_f64 v[118:119], v[52:53], s[14:15], -v[213:214]
	v_mul_f64 v[50:51], v[50:51], s[34:35]
	v_fma_f64 v[205:206], v[94:95], s[38:39], v[104:105]
	v_add_f64 v[26:27], v[253:254], v[26:27]
	v_fma_f64 v[253:254], v[48:49], s[20:21], -v[24:25]
	v_fma_f64 v[104:105], v[94:95], s[26:27], v[104:105]
	v_fma_f64 v[24:25], v[48:49], s[20:21], v[24:25]
	v_add_f64 v[159:160], v[163:164], v[159:160]
	v_add_f64 v[110:111], v[128:129], v[110:111]
	v_fma_f64 v[128:129], v[64:65], s[4:5], v[237:238]
	v_add_f64 v[163:164], v[169:170], v[165:166]
	v_add_f64 v[36:37], v[36:37], v[167:168]
	;; [unrolled: 1-line block ×6, first 2 shown]
	v_mul_f64 v[169:170], v[92:93], s[20:21]
	v_mul_f64 v[179:180], v[92:93], s[46:47]
	;; [unrolled: 1-line block ×5, first 2 shown]
	v_add_f64 v[100:101], v[148:149], v[100:101]
	v_mul_f64 v[148:149], v[96:97], s[12:13]
	v_mul_f64 v[96:97], v[96:97], s[46:47]
	v_add_f64 v[20:21], v[183:184], v[20:21]
	v_fma_f64 v[183:184], v[94:95], s[36:37], v[243:244]
	v_add_f64 v[120:121], v[144:145], v[120:121]
	v_fma_f64 v[144:145], v[94:95], s[52:53], v[116:117]
	v_add_f64 v[142:143], v[142:143], v[195:196]
	v_fma_f64 v[195:196], v[48:49], s[46:47], -v[203:204]
	v_fma_f64 v[116:117], v[94:95], s[54:55], v[116:117]
	v_fma_f64 v[203:204], v[48:49], s[46:47], v[203:204]
	v_add_f64 v[10:11], v[187:188], v[10:11]
	v_mul_f64 v[201:202], v[88:89], s[14:15]
	v_mul_f64 v[140:141], v[88:89], s[20:21]
	;; [unrolled: 1-line block ×3, first 2 shown]
	v_add_f64 v[30:31], v[233:234], v[30:31]
	v_fma_f64 v[233:234], v[94:95], s[22:23], v[207:208]
	v_fma_f64 v[146:147], v[52:53], s[16:17], -v[146:147]
	v_fma_f64 v[124:125], v[80:81], s[52:53], v[221:222]
	v_add_f64 v[28:29], v[118:119], v[28:29]
	v_fma_f64 v[118:119], v[56:57], s[16:17], -v[215:216]
	v_add_f64 v[108:109], v[219:220], v[108:109]
	v_fma_f64 v[221:222], v[80:81], s[54:55], v[221:222]
	v_fma_f64 v[251:252], v[48:49], s[14:15], -v[247:248]
	v_add_f64 v[16:17], v[16:17], v[112:113]
	v_fma_f64 v[112:113], v[90:91], s[22:23], v[189:190]
	v_add_f64 v[157:158], v[161:162], v[157:158]
	v_fma_f64 v[161:162], v[48:49], s[16:17], -v[50:51]
	v_fma_f64 v[207:208], v[94:95], s[48:49], v[207:208]
	v_fma_f64 v[199:200], v[48:49], s[18:19], v[199:200]
	v_add_f64 v[74:75], v[128:129], v[74:75]
	v_add_f64 v[6:7], v[14:15], v[6:7]
	v_add_f64 v[4:5], v[12:13], v[4:5]
	v_add_f64 v[12:13], v[181:182], v[153:154]
	v_fma_f64 v[14:15], v[94:95], s[24:25], v[243:244]
	v_fma_f64 v[128:129], v[48:49], s[14:15], v[247:248]
	v_fma_f64 v[153:154], v[52:53], s[4:5], -v[229:230]
	v_mul_f64 v[171:172], v[58:59], s[26:27]
	v_add_f64 v[104:105], v[104:105], v[163:164]
	v_fma_f64 v[94:95], v[94:95], s[50:51], v[98:99]
	v_add_f64 v[60:61], v[60:61], v[62:63]
	v_fma_f64 v[62:63], v[90:91], s[48:49], v[189:190]
	;; [unrolled: 2-line block ×3, first 2 shown]
	v_fma_f64 v[48:49], v[48:49], s[16:17], v[50:51]
	v_add_f64 v[40:41], v[44:45], v[40:41]
	v_add_f64 v[114:115], v[195:196], v[114:115]
	;; [unrolled: 1-line block ×3, first 2 shown]
	v_fma_f64 v[36:37], v[52:53], s[18:19], v[122:123]
	v_add_f64 v[44:45], v[116:117], v[165:166]
	v_fma_f64 v[50:51], v[90:91], s[28:29], v[227:228]
	v_add_f64 v[98:99], v[203:204], v[167:168]
	v_fma_f64 v[116:117], v[52:53], s[4:5], v[229:230]
	v_mul_f64 v[163:164], v[88:89], s[0:1]
	v_mul_f64 v[167:168], v[88:89], s[16:17]
	;; [unrolled: 1-line block ×4, first 2 shown]
	v_add_f64 v[22:23], v[146:147], v[22:23]
	v_fma_f64 v[146:147], v[76:77], s[34:35], v[136:137]
	v_fma_f64 v[136:137], v[76:77], s[50:51], v[136:137]
	v_add_f64 v[28:29], v[118:119], v[28:29]
	v_add_f64 v[108:109], v[124:125], v[108:109]
	;; [unrolled: 1-line block ×3, first 2 shown]
	v_fma_f64 v[173:174], v[90:91], s[30:31], v[148:149]
	v_add_f64 v[193:194], v[245:246], v[193:194]
	v_fma_f64 v[245:246], v[86:87], s[24:25], v[102:103]
	v_mul_f64 v[191:192], v[54:55], s[30:31]
	v_mul_f64 v[54:55], v[54:55], s[54:55]
	;; [unrolled: 1-line block ×3, first 2 shown]
	v_add_f64 v[2:3], v[6:7], v[2:3]
	v_fma_f64 v[217:218], v[52:53], s[0:1], -v[217:218]
	v_fma_f64 v[151:152], v[52:53], s[18:19], -v[122:123]
	v_add_f64 v[12:13], v[14:15], v[12:13]
	v_fma_f64 v[14:15], v[90:91], s[40:41], v[148:149]
	v_fma_f64 v[148:149], v[64:65], s[20:21], -v[134:135]
	v_add_f64 v[32:33], v[253:254], v[32:33]
	v_mul_f64 v[181:182], v[58:59], s[52:53]
	v_add_f64 v[8:9], v[161:162], v[8:9]
	v_add_f64 v[30:31], v[233:234], v[30:31]
	v_fma_f64 v[233:234], v[90:91], s[36:37], v[126:127]
	v_add_f64 v[42:43], v[205:206], v[42:43]
	v_add_f64 v[10:11], v[183:184], v[10:11]
	v_fma_f64 v[183:184], v[86:87], s[44:45], v[92:93]
	v_add_f64 v[38:39], v[144:145], v[38:39]
	v_add_f64 v[114:115], v[153:154], v[114:115]
	v_fma_f64 v[153:154], v[56:57], s[20:21], -v[171:172]
	v_add_f64 v[24:25], v[36:37], v[24:25]
	v_fma_f64 v[144:145], v[90:91], s[42:43], v[227:228]
	v_add_f64 v[36:37], v[50:51], v[44:45]
	v_add_f64 v[16:17], v[251:252], v[16:17]
	;; [unrolled: 1-line block ×3, first 2 shown]
	v_fma_f64 v[116:117], v[56:57], s[20:21], v[171:172]
	v_add_f64 v[157:158], v[207:208], v[157:158]
	v_fma_f64 v[126:127], v[90:91], s[24:25], v[126:127]
	v_fma_f64 v[171:172], v[80:81], s[40:41], v[88:89]
	v_add_f64 v[159:160], v[199:200], v[159:160]
	v_fma_f64 v[185:186], v[52:53], s[14:15], v[213:214]
	v_add_f64 v[18:19], v[128:129], v[18:19]
	v_mul_f64 v[211:212], v[66:67], s[36:37]
	v_add_f64 v[6:7], v[146:147], v[108:109]
	v_fma_f64 v[209:210], v[56:57], s[4:5], -v[209:210]
	v_fma_f64 v[90:91], v[90:91], s[52:53], v[96:97]
	v_add_f64 v[60:61], v[94:95], v[60:61]
	v_add_f64 v[193:194], v[245:246], v[193:194]
	v_fma_f64 v[245:246], v[80:81], s[24:25], v[201:202]
	v_fma_f64 v[161:162], v[52:53], s[46:47], -v[54:55]
	v_fma_f64 v[175:176], v[52:53], s[12:13], -v[191:192]
	v_fma_f64 v[122:123], v[52:53], s[12:13], v[191:192]
	v_fma_f64 v[52:53], v[52:53], s[46:47], v[54:55]
	v_add_f64 v[40:41], v[48:49], v[40:41]
	v_mul_f64 v[223:224], v[66:67], s[54:55]
	v_add_f64 v[46:47], v[217:218], v[46:47]
	v_add_f64 v[28:29], v[148:149], v[28:29]
	v_fma_f64 v[217:218], v[56:57], s[18:19], v[130:131]
	v_fma_f64 v[130:131], v[56:57], s[18:19], -v[130:131]
	v_add_f64 v[32:33], v[151:152], v[32:33]
	v_mul_f64 v[165:166], v[66:67], s[10:11]
	v_mul_f64 v[187:188], v[66:67], s[34:35]
	;; [unrolled: 1-line block ×3, first 2 shown]
	v_add_f64 v[30:31], v[233:234], v[30:31]
	v_add_f64 v[10:11], v[183:184], v[10:11]
	v_fma_f64 v[233:234], v[86:87], s[50:51], v[155:156]
	v_add_f64 v[42:43], v[112:113], v[42:43]
	v_fma_f64 v[112:113], v[86:87], s[40:41], v[239:240]
	v_add_f64 v[34:35], v[173:174], v[34:35]
	v_add_f64 v[38:39], v[144:145], v[38:39]
	v_fma_f64 v[144:145], v[86:87], s[26:27], v[169:170]
	v_fma_f64 v[173:174], v[86:87], s[52:53], v[179:180]
	v_mul_f64 v[191:192], v[66:67], s[48:49]
	v_fma_f64 v[197:198], v[86:87], s[28:29], v[197:198]
	v_fma_f64 v[102:103], v[86:87], s[36:37], v[102:103]
	v_add_f64 v[66:67], v[126:127], v[157:158]
	v_add_f64 v[12:13], v[14:15], v[12:13]
	v_fma_f64 v[50:51], v[56:57], s[16:17], v[215:216]
	v_add_f64 v[94:95], v[185:186], v[159:160]
	v_add_f64 v[62:63], v[62:63], v[104:105]
	v_fma_f64 v[96:97], v[86:87], s[30:31], v[239:240]
	v_fma_f64 v[104:105], v[86:87], s[38:39], v[169:170]
	;; [unrolled: 1-line block ×4, first 2 shown]
	v_fma_f64 v[211:212], v[64:65], s[14:15], -v[211:212]
	v_add_f64 v[22:23], v[209:210], v[22:23]
	v_add_f64 v[124:125], v[245:246], v[142:143]
	v_mul_f64 v[142:143], v[58:59], s[40:41]
	v_mul_f64 v[58:59], v[58:59], s[44:45]
	v_add_f64 v[8:9], v[161:162], v[8:9]
	v_add_f64 v[16:17], v[175:176], v[16:17]
	v_fma_f64 v[175:176], v[56:57], s[46:47], -v[181:182]
	v_add_f64 v[14:15], v[122:123], v[18:19]
	v_fma_f64 v[18:19], v[86:87], s[34:35], v[155:156]
	v_fma_f64 v[122:123], v[86:87], s[54:55], v[179:180]
	;; [unrolled: 1-line block ×3, first 2 shown]
	v_add_f64 v[60:61], v[90:91], v[60:61]
	v_add_f64 v[40:41], v[52:53], v[40:41]
	v_mul_f64 v[138:139], v[84:85], s[50:51]
	v_mul_f64 v[241:242], v[82:83], s[46:47]
	;; [unrolled: 1-line block ×4, first 2 shown]
	v_add_f64 v[148:149], v[171:172], v[10:11]
	v_add_f64 v[10:11], v[136:137], v[110:111]
	scratch_load_b64 v[109:110], off, off   ; 8-byte Folded Reload
	v_mul_f64 v[132:133], v[84:85], s[48:49]
	v_fma_f64 v[231:232], v[64:65], s[46:47], v[223:224]
	v_fma_f64 v[223:224], v[64:65], s[46:47], -v[223:224]
	v_add_f64 v[46:47], v[130:131], v[46:47]
	v_mul_f64 v[155:156], v[84:85], s[44:45]
	v_mul_f64 v[157:158], v[82:83], s[4:5]
	v_mul_f64 v[159:160], v[84:85], s[42:43]
	v_add_f64 v[114:115], v[153:154], v[114:115]
	v_fma_f64 v[153:154], v[64:65], s[16:17], -v[187:188]
	v_mul_f64 v[161:162], v[82:83], s[12:13]
	v_mul_f64 v[169:170], v[84:85], s[40:41]
	;; [unrolled: 1-line block ×5, first 2 shown]
	v_add_f64 v[30:31], v[233:234], v[30:31]
	v_fma_f64 v[128:129], v[80:81], s[26:27], v[140:141]
	v_add_f64 v[42:43], v[112:113], v[42:43]
	v_fma_f64 v[112:113], v[80:81], s[10:11], v[163:164]
	v_add_f64 v[38:39], v[144:145], v[38:39]
	v_fma_f64 v[144:145], v[80:81], s[34:35], v[167:168]
	v_fma_f64 v[151:152], v[56:57], s[12:13], -v[142:143]
	v_fma_f64 v[48:49], v[56:57], s[0:1], -v[58:59]
	v_fma_f64 v[98:99], v[56:57], s[12:13], v[142:143]
	v_fma_f64 v[56:57], v[56:57], s[0:1], v[58:59]
	v_mul_f64 v[142:143], v[82:83], s[0:1]
	v_mul_f64 v[82:83], v[82:83], s[14:15]
	v_add_f64 v[34:35], v[173:174], v[34:35]
	v_add_f64 v[16:17], v[175:176], v[16:17]
	v_fma_f64 v[52:53], v[80:81], s[48:49], v[189:190]
	v_fma_f64 v[58:59], v[64:65], s[18:19], -v[191:192]
	v_fma_f64 v[201:202], v[80:81], s[36:37], v[201:202]
	v_add_f64 v[26:27], v[197:198], v[26:27]
	v_add_f64 v[100:101], v[217:218], v[100:101]
	v_fma_f64 v[217:218], v[80:81], s[28:29], v[235:236]
	v_fma_f64 v[235:236], v[80:81], s[42:43], v[235:236]
	v_fma_f64 v[237:238], v[64:65], s[4:5], -v[237:238]
	v_add_f64 v[102:103], v[102:103], v[106:107]
	v_add_f64 v[18:19], v[18:19], v[66:67]
	;; [unrolled: 1-line block ×3, first 2 shown]
	v_fma_f64 v[66:67], v[80:81], s[38:39], v[140:141]
	v_fma_f64 v[94:95], v[64:65], s[20:21], v[134:135]
	v_add_f64 v[62:63], v[96:97], v[62:63]
	v_add_f64 v[36:37], v[104:105], v[36:37]
	;; [unrolled: 1-line block ×5, first 2 shown]
	v_fma_f64 v[96:97], v[80:81], s[44:45], v[163:164]
	v_fma_f64 v[104:105], v[80:81], s[50:51], v[167:168]
	v_fma_f64 v[116:117], v[64:65], s[16:17], v[187:188]
	v_fma_f64 v[122:123], v[80:81], s[22:23], v[189:190]
	v_fma_f64 v[126:127], v[64:65], s[18:19], v[191:192]
	v_add_f64 v[163:164], v[211:212], v[22:23]
	v_fma_f64 v[22:23], v[80:81], s[30:31], v[88:89]
	v_add_f64 v[60:61], v[86:87], v[60:61]
	v_fma_f64 v[219:220], v[78:79], s[16:17], v[138:139]
	v_fma_f64 v[138:139], v[78:79], s[16:17], -v[138:139]
	v_add_f64 v[46:47], v[223:224], v[46:47]
	v_add_f64 v[88:89], v[153:154], v[114:115]
	;; [unrolled: 1-line block ×3, first 2 shown]
	v_fma_f64 v[151:152], v[64:65], s[0:1], -v[165:166]
	v_add_f64 v[8:9], v[48:49], v[8:9]
	v_fma_f64 v[48:49], v[64:65], s[12:13], -v[54:55]
	v_add_f64 v[24:25], v[98:99], v[24:25]
	v_fma_f64 v[98:99], v[64:65], s[0:1], v[165:166]
	v_fma_f64 v[54:55], v[64:65], s[12:13], v[54:55]
	v_add_f64 v[40:41], v[56:57], v[40:41]
	v_fma_f64 v[153:154], v[78:79], s[14:15], -v[84:85]
	v_add_f64 v[30:31], v[128:129], v[30:31]
	v_add_f64 v[42:43], v[112:113], v[42:43]
	v_fma_f64 v[80:81], v[76:77], s[42:43], v[157:158]
	v_add_f64 v[38:39], v[144:145], v[38:39]
	v_add_f64 v[52:53], v[52:53], v[34:35]
	;; [unrolled: 1-line block ×3, first 2 shown]
	v_fma_f64 v[128:129], v[76:77], s[38:39], v[90:91]
	v_fma_f64 v[144:145], v[78:79], s[20:21], -v[92:93]
	v_fma_f64 v[112:113], v[76:77], s[40:41], v[161:162]
	v_fma_f64 v[114:115], v[78:79], s[12:13], -v[169:170]
	v_fma_f64 v[86:87], v[78:79], s[4:5], -v[159:160]
	v_fma_f64 v[56:57], v[76:77], s[44:45], v[142:143]
	v_fma_f64 v[64:65], v[78:79], s[0:1], -v[155:156]
	v_fma_f64 v[140:141], v[78:79], s[18:19], v[132:133]
	v_add_f64 v[26:27], v[201:202], v[26:27]
	v_fma_f64 v[165:166], v[76:77], s[48:49], v[177:178]
	v_fma_f64 v[132:133], v[78:79], s[18:19], -v[132:133]
	v_fma_f64 v[130:131], v[76:77], s[52:53], v[241:242]
	v_fma_f64 v[106:107], v[78:79], s[46:47], v[249:250]
	;; [unrolled: 1-line block ×3, first 2 shown]
	v_fma_f64 v[249:250], v[78:79], s[46:47], -v[249:250]
	v_add_f64 v[102:103], v[235:236], v[102:103]
	v_add_f64 v[120:121], v[237:238], v[120:121]
	;; [unrolled: 1-line block ×5, first 2 shown]
	v_fma_f64 v[134:135], v[76:77], s[22:23], v[177:178]
	v_add_f64 v[66:67], v[66:67], v[18:19]
	v_add_f64 v[94:95], v[94:95], v[50:51]
	v_fma_f64 v[50:51], v[76:77], s[10:11], v[142:143]
	v_add_f64 v[32:33], v[151:152], v[32:33]
	v_fma_f64 v[151:152], v[76:77], s[36:37], v[82:83]
	;; [unrolled: 2-line block ×3, first 2 shown]
	v_add_f64 v[62:63], v[96:97], v[62:63]
	v_add_f64 v[96:97], v[98:99], v[24:25]
	;; [unrolled: 1-line block ×6, first 2 shown]
	v_fma_f64 v[126:127], v[76:77], s[28:29], v[157:158]
	v_fma_f64 v[157:158], v[78:79], s[4:5], v[159:160]
	;; [unrolled: 1-line block ×6, first 2 shown]
	v_add_f64 v[159:160], v[22:23], v[60:61]
	v_fma_f64 v[60:61], v[78:79], s[20:21], v[92:93]
	v_fma_f64 v[78:79], v[78:79], s[14:15], v[84:85]
	v_add_f64 v[84:85], v[54:55], v[40:41]
	v_add_f64 v[0:1], v[4:5], v[0:1]
	;; [unrolled: 1-line block ×32, first 2 shown]
	ds_store_b128 v71, v[0:3]
	ds_store_b128 v71, v[44:47] offset:16
	ds_store_b128 v71, v[40:43] offset:32
	;; [unrolled: 1-line block ×16, first 2 shown]
.LBB0_21:
	s_or_b32 exec_lo, exec_lo, s33
	v_add_nc_u32_e32 v4, 0x99, v70
	v_and_b32_e32 v5, 0xff, v70
	v_add_nc_u32_e32 v0, 0x132, v70
	v_add_nc_u32_e32 v1, 0x1cb, v70
	s_waitcnt vmcnt(0) lgkmcnt(0)
	s_waitcnt_vscnt null, 0x0
	v_and_b32_e32 v7, 0xffff, v4
	v_mul_lo_u16 v3, 0xf1, v5
	v_and_b32_e32 v2, 0xffff, v0
	s_barrier
	buffer_gl0_inv
	v_mul_u32_u24_e32 v8, 0xf0f1, v7
	v_lshrrev_b16 v6, 12, v3
	v_and_b32_e32 v3, 0xffff, v1
	v_mul_u32_u24_e32 v9, 0xf0f1, v2
	v_mul_u32_u24_e32 v7, 0xa0a1, v7
	v_lshrrev_b32_e32 v8, 20, v8
	v_mul_lo_u16 v10, v6, 17
	v_mul_u32_u24_e32 v11, 0xf0f1, v3
	v_lshrrev_b32_e32 v13, 20, v9
	s_mov_b32 s4, 0xe8584caa
	v_mul_lo_u16 v9, v8, 17
	v_sub_nc_u16 v10, v70, v10
	v_lshrrev_b32_e32 v14, 20, v11
	v_mul_lo_u16 v11, v13, 17
	s_mov_b32 s5, 0x3febb67a
	v_sub_nc_u16 v9, v4, v9
	v_and_b32_e32 v10, 0xff, v10
	v_mul_lo_u16 v12, v14, 17
	v_sub_nc_u16 v15, v0, v11
	s_mov_b32 s11, 0xbfebb67a
	v_and_b32_e32 v11, 0xffff, v9
	v_lshlrev_b32_e32 v9, 5, v10
	v_sub_nc_u16 v24, v1, v12
	v_and_b32_e32 v12, 0xffff, v15
	s_mov_b32 s10, s4
	v_lshlrev_b32_e32 v28, 5, v11
	s_clause 0x1
	global_load_b128 v[16:19], v9, s[8:9]
	global_load_b128 v[20:23], v9, s[8:9] offset:16
	v_and_b32_e32 v15, 0xffff, v24
	v_lshlrev_b32_e32 v9, 5, v12
	v_mul_lo_u16 v5, 0xa1, v5
	s_clause 0x1
	global_load_b128 v[24:27], v28, s[8:9]
	global_load_b128 v[28:31], v28, s[8:9] offset:16
	v_lshlrev_b32_e32 v11, 4, v11
	v_lshlrev_b32_e32 v44, 5, v15
	s_clause 0x3
	global_load_b128 v[32:35], v9, s[8:9]
	global_load_b128 v[36:39], v9, s[8:9] offset:16
	global_load_b128 v[40:43], v44, s[8:9]
	global_load_b128 v[44:47], v44, s[8:9] offset:16
	ds_load_b128 v[48:51], v150 offset:9792
	ds_load_b128 v[52:55], v150 offset:19584
	;; [unrolled: 1-line block ×8, first 2 shown]
	v_lshrrev_b32_e32 v9, 21, v7
	v_lshrrev_b16 v5, 13, v5
	v_mul_u32_u24_e32 v13, 0x330, v13
	v_mul_u32_u24_e32 v14, 0x330, v14
	v_lshlrev_b32_e32 v12, 4, v12
	v_lshlrev_b32_e32 v15, 4, v15
	v_mul_lo_u16 v71, v5, 51
	v_and_b32_e32 v5, 0xffff, v5
	s_delay_alu instid0(VALU_DEP_4) | instskip(NEXT) | instid1(VALU_DEP_4)
	v_add3_u32 v12, 0, v13, v12
	v_add3_u32 v13, 0, v14, v15
	s_delay_alu instid0(VALU_DEP_3)
	v_mul_u32_u24_e32 v5, 0x990, v5
	s_waitcnt vmcnt(7) lgkmcnt(7)
	v_mul_f64 v[74:75], v[50:51], v[18:19]
	v_mul_f64 v[18:19], v[48:49], v[18:19]
	s_waitcnt vmcnt(6) lgkmcnt(6)
	v_mul_f64 v[88:89], v[54:55], v[22:23]
	v_mul_f64 v[22:23], v[52:53], v[22:23]
	;; [unrolled: 3-line block ×8, first 2 shown]
	v_fma_f64 v[48:49], v[48:49], v[16:17], -v[74:75]
	v_fma_f64 v[50:51], v[50:51], v[16:17], v[18:19]
	v_fma_f64 v[52:53], v[52:53], v[20:21], -v[88:89]
	v_fma_f64 v[54:55], v[54:55], v[20:21], v[22:23]
	;; [unrolled: 2-line block ×8, first 2 shown]
	ds_load_b128 v[16:19], v150
	ds_load_b128 v[20:23], v150 offset:2448
	ds_load_b128 v[24:27], v150 offset:4896
	;; [unrolled: 1-line block ×3, first 2 shown]
	s_waitcnt lgkmcnt(0)
	s_barrier
	buffer_gl0_inv
	v_add_f64 v[86:87], v[16:17], v[48:49]
	v_add_f64 v[46:47], v[48:49], v[52:53]
	v_add_f64 v[66:67], v[50:51], v[54:55]
	v_add_f64 v[88:89], v[50:51], -v[54:55]
	v_add_f64 v[50:51], v[18:19], v[50:51]
	v_add_f64 v[74:75], v[56:57], v[60:61]
	;; [unrolled: 1-line block ×4, first 2 shown]
	v_add_f64 v[48:49], v[48:49], -v[52:53]
	v_add_f64 v[78:79], v[64:65], v[34:35]
	v_add_f64 v[80:81], v[32:33], v[36:37]
	;; [unrolled: 1-line block ×8, first 2 shown]
	v_add_f64 v[58:59], v[58:59], -v[62:63]
	v_add_f64 v[56:57], v[56:57], -v[60:61]
	v_add_f64 v[100:101], v[30:31], v[40:41]
	v_add_f64 v[102:103], v[32:33], -v[36:37]
	v_add_f64 v[64:65], v[64:65], -v[34:35]
	;; [unrolled: 1-line block ×4, first 2 shown]
	v_fma_f64 v[46:47], v[46:47], -0.5, v[16:17]
	v_fma_f64 v[66:67], v[66:67], -0.5, v[18:19]
	v_mul_u32_u24_e32 v16, 0xa0a1, v2
	v_mul_u32_u24_e32 v17, 0xa0a1, v3
	v_fma_f64 v[74:75], v[74:75], -0.5, v[20:21]
	v_fma_f64 v[76:77], v[76:77], -0.5, v[22:23]
	v_and_b32_e32 v18, 0xffff, v6
	v_lshrrev_b32_e32 v7, 21, v16
	v_fma_f64 v[78:79], v[78:79], -0.5, v[24:25]
	v_fma_f64 v[80:81], v[80:81], -0.5, v[26:27]
	v_lshrrev_b32_e32 v6, 21, v17
	v_mul_u32_u24_e32 v108, 0x330, v18
	v_fma_f64 v[82:83], v[82:83], -0.5, v[28:29]
	v_fma_f64 v[84:85], v[84:85], -0.5, v[30:31]
	v_add_f64 v[16:17], v[86:87], v[52:53]
	v_add_f64 v[18:19], v[50:51], v[54:55]
	;; [unrolled: 1-line block ×8, first 2 shown]
	v_mul_u32_u24_e32 v2, 0x358b, v2
	v_mul_u32_u24_e32 v3, 0x358b, v3
	s_delay_alu instid0(VALU_DEP_2) | instskip(NEXT) | instid1(VALU_DEP_2)
	v_lshrrev_b32_e32 v2, 21, v2
	v_lshrrev_b32_e32 v3, 21, v3
	s_delay_alu instid0(VALU_DEP_2) | instskip(NEXT) | instid1(VALU_DEP_2)
	v_mul_lo_u16 v2, 0x99, v2
	v_mul_lo_u16 v3, 0x99, v3
	v_fma_f64 v[32:33], v[88:89], s[4:5], v[46:47]
	v_fma_f64 v[34:35], v[48:49], s[10:11], v[66:67]
	;; [unrolled: 1-line block ×16, first 2 shown]
	v_mul_lo_u16 v65, v9, 51
	v_mul_u32_u24_e32 v64, 0x330, v8
	v_sub_nc_u16 v8, v70, v71
	v_mul_lo_u16 v66, v7, 51
	v_mul_lo_u16 v67, v6, 51
	v_sub_nc_u16 v4, v4, v65
	v_add3_u32 v11, 0, v64, v11
	v_and_b32_e32 v8, 0xff, v8
	v_sub_nc_u16 v65, v0, v66
	v_lshlrev_b32_e32 v66, 4, v10
	v_and_b32_e32 v4, 0xffff, v4
	v_sub_nc_u16 v67, v1, v67
	v_lshlrev_b32_e32 v71, 5, v8
	v_and_b32_e32 v10, 0xffff, v65
	v_add3_u32 v65, 0, v108, v66
	v_lshlrev_b32_e32 v66, 5, v4
	v_add_nc_u32_e32 v106, 0x2fd, v70
	v_sub_nc_u16 v0, v0, v2
	v_sub_nc_u16 v1, v1, v3
	v_lshlrev_b32_e32 v8, 4, v8
	v_add_co_u32 v104, s0, s8, v109
	ds_store_b128 v65, v[16:19]
	ds_store_b128 v65, v[32:35] offset:272
	ds_store_b128 v65, v[36:39] offset:544
	ds_store_b128 v11, v[20:23]
	ds_store_b128 v11, v[40:43] offset:272
	ds_store_b128 v11, v[44:47] offset:544
	;; [unrolled: 3-line block ×4, first 2 shown]
	s_waitcnt lgkmcnt(0)
	s_barrier
	buffer_gl0_inv
	s_clause 0x1
	global_load_b128 v[12:15], v71, s[8:9] offset:544
	global_load_b128 v[16:19], v71, s[8:9] offset:560
	v_and_b32_e32 v11, 0xffff, v67
	v_lshlrev_b32_e32 v32, 5, v10
	s_clause 0x1
	global_load_b128 v[20:23], v66, s[8:9] offset:544
	global_load_b128 v[24:27], v66, s[8:9] offset:560
	v_add_nc_u32_e32 v71, 0x264, v70
	v_and_b32_e32 v108, 0xffff, v106
	v_lshlrev_b32_e32 v40, 5, v11
	s_clause 0x3
	global_load_b128 v[28:31], v32, s[8:9] offset:544
	global_load_b128 v[32:35], v32, s[8:9] offset:560
	;; [unrolled: 1-line block ×4, first 2 shown]
	ds_load_b128 v[44:47], v150 offset:9792
	ds_load_b128 v[48:51], v150 offset:19584
	;; [unrolled: 1-line block ×8, first 2 shown]
	v_and_b32_e32 v107, 0xffff, v71
	v_mul_u32_u24_e32 v9, 0x990, v9
	v_and_b32_e32 v0, 0xffff, v0
	v_mul_u32_u24_e32 v7, 0x990, v7
	v_mul_u32_u24_e32 v6, 0x990, v6
	v_add_co_ci_u32_e64 v105, s0, s9, v110, s0
	s_waitcnt vmcnt(7) lgkmcnt(7)
	v_mul_f64 v[74:75], v[46:47], v[14:15]
	v_mul_f64 v[14:15], v[44:45], v[14:15]
	s_waitcnt vmcnt(6) lgkmcnt(6)
	v_mul_f64 v[84:85], v[50:51], v[18:19]
	v_mul_f64 v[18:19], v[48:49], v[18:19]
	;; [unrolled: 3-line block ×8, first 2 shown]
	v_fma_f64 v[44:45], v[44:45], v[12:13], -v[74:75]
	v_fma_f64 v[46:47], v[46:47], v[12:13], v[14:15]
	v_fma_f64 v[48:49], v[48:49], v[16:17], -v[84:85]
	v_fma_f64 v[50:51], v[50:51], v[16:17], v[18:19]
	;; [unrolled: 2-line block ×8, first 2 shown]
	ds_load_b128 v[12:15], v150
	ds_load_b128 v[16:19], v150 offset:2448
	ds_load_b128 v[20:23], v150 offset:4896
	;; [unrolled: 1-line block ×3, first 2 shown]
	s_waitcnt lgkmcnt(0)
	s_barrier
	buffer_gl0_inv
	v_add_f64 v[82:83], v[12:13], v[44:45]
	v_add_f64 v[42:43], v[44:45], v[48:49]
	;; [unrolled: 1-line block ×3, first 2 shown]
	v_add_f64 v[84:85], v[46:47], -v[50:51]
	v_add_f64 v[46:47], v[14:15], v[46:47]
	v_add_f64 v[64:65], v[52:53], v[56:57]
	;; [unrolled: 1-line block ×4, first 2 shown]
	v_add_f64 v[44:45], v[44:45], -v[48:49]
	v_add_f64 v[74:75], v[60:61], v[30:31]
	v_add_f64 v[76:77], v[28:29], v[32:33]
	;; [unrolled: 1-line block ×8, first 2 shown]
	v_add_f64 v[54:55], v[54:55], -v[58:59]
	v_add_f64 v[52:53], v[52:53], -v[56:57]
	v_add_f64 v[96:97], v[26:27], v[36:37]
	v_add_f64 v[98:99], v[28:29], -v[32:33]
	v_add_f64 v[60:61], v[60:61], -v[30:31]
	;; [unrolled: 1-line block ×4, first 2 shown]
	v_fma_f64 v[42:43], v[42:43], -0.5, v[12:13]
	v_fma_f64 v[62:63], v[62:63], -0.5, v[14:15]
	v_mul_u32_u24_e32 v12, 0x358b, v107
	v_mul_u32_u24_e32 v13, 0x358b, v108
	v_fma_f64 v[64:65], v[64:65], -0.5, v[16:17]
	v_fma_f64 v[66:67], v[66:67], -0.5, v[18:19]
	v_add_f64 v[14:15], v[46:47], v[50:51]
	v_lshrrev_b32_e32 v107, 21, v12
	v_fma_f64 v[74:75], v[74:75], -0.5, v[20:21]
	v_fma_f64 v[76:77], v[76:77], -0.5, v[22:23]
	v_lshrrev_b32_e32 v108, 21, v13
	v_add_f64 v[12:13], v[82:83], v[48:49]
	v_fma_f64 v[78:79], v[78:79], -0.5, v[24:25]
	v_fma_f64 v[80:81], v[80:81], -0.5, v[26:27]
	v_add_f64 v[20:21], v[90:91], v[30:31]
	v_add_f64 v[22:23], v[92:93], v[32:33]
	;; [unrolled: 1-line block ×6, first 2 shown]
	v_fma_f64 v[28:29], v[84:85], s[4:5], v[42:43]
	v_fma_f64 v[30:31], v[44:45], s[10:11], v[62:63]
	;; [unrolled: 1-line block ×16, first 2 shown]
	v_mul_lo_u16 v60, 0x99, v107
	v_mul_lo_u16 v61, 0x99, v108
	s_delay_alu instid0(VALU_DEP_2) | instskip(NEXT) | instid1(VALU_DEP_2)
	v_sub_nc_u16 v2, v71, v60
	v_sub_nc_u16 v3, v106, v61
	v_and_b32_e32 v60, 0xffff, v1
	v_lshlrev_b32_e32 v1, 4, v4
	v_add3_u32 v4, 0, v5, v8
	v_and_b32_e32 v61, 0xffff, v2
	v_and_b32_e32 v62, 0xffff, v3
	v_lshlrev_b32_e32 v2, 4, v10
	v_lshlrev_b32_e32 v3, 4, v11
	;; [unrolled: 1-line block ×3, first 2 shown]
	v_add3_u32 v0, 0, v9, v1
	v_lshlrev_b32_e32 v74, 4, v60
	v_add3_u32 v1, 0, v7, v2
	v_add3_u32 v2, 0, v6, v3
	ds_store_b128 v4, v[12:15]
	ds_store_b128 v4, v[28:31] offset:816
	ds_store_b128 v4, v[32:35] offset:1632
	ds_store_b128 v0, v[16:19]
	ds_store_b128 v0, v[36:39] offset:816
	ds_store_b128 v0, v[40:43] offset:1632
	ds_store_b128 v1, v[20:23]
	ds_store_b128 v1, v[44:47] offset:816
	ds_store_b128 v1, v[48:51] offset:1632
	ds_store_b128 v2, v[24:27]
	ds_store_b128 v2, v[52:55] offset:816
	ds_store_b128 v2, v[56:59] offset:1632
	s_waitcnt lgkmcnt(0)
	s_barrier
	buffer_gl0_inv
	s_clause 0x1
	global_load_b128 v[0:3], v[104:105], off offset:2176
	global_load_b128 v[4:7], v71, s[8:9] offset:2176
	v_lshlrev_b32_e32 v75, 4, v61
	v_lshlrev_b32_e32 v76, 4, v62
	s_clause 0x2
	global_load_b128 v[8:11], v74, s[8:9] offset:2176
	global_load_b128 v[12:15], v75, s[8:9] offset:2176
	;; [unrolled: 1-line block ×3, first 2 shown]
	ds_load_b128 v[20:23], v150 offset:14688
	ds_load_b128 v[24:27], v150 offset:17136
	;; [unrolled: 1-line block ×6, first 2 shown]
	s_waitcnt vmcnt(4) lgkmcnt(5)
	v_mul_f64 v[44:45], v[22:23], v[2:3]
	v_mul_f64 v[46:47], v[20:21], v[2:3]
	s_waitcnt lgkmcnt(4)
	v_mul_f64 v[48:49], v[26:27], v[2:3]
	v_mul_f64 v[2:3], v[24:25], v[2:3]
	s_waitcnt vmcnt(3) lgkmcnt(3)
	v_mul_f64 v[50:51], v[30:31], v[6:7]
	v_mul_f64 v[6:7], v[28:29], v[6:7]
	s_waitcnt vmcnt(2) lgkmcnt(2)
	;; [unrolled: 3-line block ×4, first 2 shown]
	v_mul_f64 v[56:57], v[42:43], v[18:19]
	v_mul_f64 v[18:19], v[40:41], v[18:19]
	v_fma_f64 v[44:45], v[20:21], v[0:1], -v[44:45]
	v_fma_f64 v[46:47], v[22:23], v[0:1], v[46:47]
	v_fma_f64 v[48:49], v[24:25], v[0:1], -v[48:49]
	v_fma_f64 v[58:59], v[26:27], v[0:1], v[2:3]
	v_fma_f64 v[50:51], v[28:29], v[4:5], -v[50:51]
	v_fma_f64 v[60:61], v[30:31], v[4:5], v[6:7]
	v_fma_f64 v[52:53], v[32:33], v[8:9], -v[52:53]
	v_fma_f64 v[62:63], v[34:35], v[8:9], v[10:11]
	v_fma_f64 v[54:55], v[36:37], v[12:13], -v[54:55]
	v_fma_f64 v[64:65], v[38:39], v[12:13], v[14:15]
	v_fma_f64 v[56:57], v[40:41], v[16:17], -v[56:57]
	v_fma_f64 v[66:67], v[42:43], v[16:17], v[18:19]
	ds_load_b128 v[0:3], v150
	ds_load_b128 v[4:7], v150 offset:2448
	ds_load_b128 v[8:11], v150 offset:4896
	;; [unrolled: 1-line block ×5, first 2 shown]
	s_waitcnt lgkmcnt(0)
	s_barrier
	buffer_gl0_inv
	v_add_f64 v[24:25], v[0:1], -v[44:45]
	v_add_f64 v[26:27], v[2:3], -v[46:47]
	;; [unrolled: 1-line block ×12, first 2 shown]
	v_mul_u32_u24_e32 v48, 5, v70
	v_add_nc_u32_e32 v56, 0, v71
	v_add_nc_u32_e32 v57, 0, v74
	;; [unrolled: 1-line block ×4, first 2 shown]
	v_lshlrev_b32_e32 v48, 4, v48
	s_delay_alu instid0(VALU_DEP_1) | instskip(NEXT) | instid1(VALU_DEP_1)
	v_add_co_u32 v54, s0, s8, v48
	v_add_co_ci_u32_e64 v55, null, s9, 0, s0
	s_delay_alu instid0(VALU_DEP_2) | instskip(NEXT) | instid1(VALU_DEP_1)
	v_add_co_u32 v48, s0, 0x1210, v54
	v_add_co_ci_u32_e64 v49, s0, 0, v55, s0
	v_add_co_u32 v50, s0, 0x1000, v54
	s_delay_alu instid0(VALU_DEP_1) | instskip(SKIP_1) | instid1(VALU_DEP_1)
	v_add_co_ci_u32_e64 v51, s0, 0, v55, s0
	v_add_co_u32 v52, s0, 0x41e0, v54
	v_add_co_ci_u32_e64 v53, s0, 0, v55, s0
	v_fma_f64 v[0:1], v[0:1], 2.0, -v[24:25]
	v_fma_f64 v[2:3], v[2:3], 2.0, -v[26:27]
	;; [unrolled: 1-line block ×12, first 2 shown]
	ds_store_b128 v150, v[0:3]
	ds_store_b128 v150, v[24:27] offset:2448
	ds_store_b128 v150, v[4:7] offset:4896
	;; [unrolled: 1-line block ×11, first 2 shown]
	s_waitcnt lgkmcnt(0)
	s_barrier
	buffer_gl0_inv
	s_clause 0x1
	global_load_b128 v[0:3], v[48:49], off offset:32
	global_load_b128 v[4:7], v[50:51], off offset:592
	v_add_co_u32 v20, s0, 0x4000, v54
	s_delay_alu instid0(VALU_DEP_1)
	v_add_co_ci_u32_e64 v21, s0, 0, v55, s0
	s_clause 0x7
	global_load_b128 v[8:11], v[52:53], off offset:32
	global_load_b128 v[12:15], v[20:21], off offset:544
	;; [unrolled: 1-line block ×8, first 2 shown]
	ds_load_b128 v[40:43], v150 offset:14688
	ds_load_b128 v[44:47], v150 offset:24480
	;; [unrolled: 1-line block ×6, first 2 shown]
	s_waitcnt vmcnt(9) lgkmcnt(5)
	v_mul_f64 v[64:65], v[42:43], v[2:3]
	v_mul_f64 v[2:3], v[40:41], v[2:3]
	s_waitcnt vmcnt(8) lgkmcnt(4)
	v_mul_f64 v[66:67], v[44:45], v[6:7]
	v_mul_f64 v[6:7], v[46:47], v[6:7]
	;; [unrolled: 3-line block ×5, first 2 shown]
	v_fma_f64 v[40:41], v[40:41], v[0:1], -v[64:65]
	v_fma_f64 v[42:43], v[42:43], v[0:1], v[2:3]
	v_fma_f64 v[46:47], v[46:47], v[4:5], v[66:67]
	v_fma_f64 v[44:45], v[44:45], v[4:5], -v[6:7]
	s_waitcnt vmcnt(4) lgkmcnt(0)
	v_mul_f64 v[64:65], v[62:63], v[22:23]
	v_mul_f64 v[22:23], v[60:61], v[22:23]
	v_fma_f64 v[48:49], v[48:49], v[8:9], -v[74:75]
	v_fma_f64 v[50:51], v[50:51], v[8:9], v[10:11]
	v_fma_f64 v[54:55], v[54:55], v[12:13], v[76:77]
	v_fma_f64 v[52:53], v[52:53], v[12:13], -v[14:15]
	ds_load_b128 v[0:3], v150 offset:9792
	ds_load_b128 v[4:7], v150 offset:19584
	;; [unrolled: 1-line block ×4, first 2 shown]
	v_fma_f64 v[56:57], v[56:57], v[16:17], -v[78:79]
	v_fma_f64 v[16:17], v[58:59], v[16:17], v[18:19]
	s_waitcnt vmcnt(3) lgkmcnt(3)
	v_mul_f64 v[66:67], v[2:3], v[26:27]
	v_mul_f64 v[26:27], v[0:1], v[26:27]
	s_waitcnt vmcnt(2) lgkmcnt(2)
	v_mul_f64 v[74:75], v[6:7], v[30:31]
	v_mul_f64 v[30:31], v[4:5], v[30:31]
	;; [unrolled: 3-line block ×4, first 2 shown]
	v_add_f64 v[18:19], v[42:43], v[46:47]
	v_add_f64 v[58:59], v[40:41], v[44:45]
	v_fma_f64 v[60:61], v[60:61], v[20:21], -v[64:65]
	v_fma_f64 v[20:21], v[62:63], v[20:21], v[22:23]
	v_add_f64 v[22:23], v[50:51], v[54:55]
	v_add_f64 v[62:63], v[48:49], v[52:53]
	v_fma_f64 v[64:65], v[0:1], v[24:25], -v[66:67]
	v_fma_f64 v[24:25], v[2:3], v[24:25], v[26:27]
	v_fma_f64 v[26:27], v[4:5], v[28:29], -v[74:75]
	v_fma_f64 v[28:29], v[6:7], v[28:29], v[30:31]
	v_add_f64 v[0:1], v[42:43], -v[46:47]
	v_add_f64 v[2:3], v[40:41], -v[44:45]
	v_fma_f64 v[8:9], v[8:9], v[32:33], -v[76:77]
	v_fma_f64 v[10:11], v[10:11], v[32:33], v[34:35]
	v_fma_f64 v[12:13], v[12:13], v[36:37], -v[78:79]
	v_fma_f64 v[14:15], v[14:15], v[36:37], v[38:39]
	v_add_f64 v[30:31], v[48:49], -v[52:53]
	v_add_f64 v[40:41], v[56:57], v[40:41]
	v_fma_f64 v[4:5], v[18:19], -0.5, v[16:17]
	v_fma_f64 v[6:7], v[58:59], -0.5, v[56:57]
	v_add_f64 v[18:19], v[50:51], -v[54:55]
	v_add_f64 v[16:17], v[16:17], v[42:43]
	v_add_f64 v[48:49], v[60:61], v[48:49]
	v_fma_f64 v[22:23], v[22:23], -0.5, v[20:21]
	v_fma_f64 v[32:33], v[62:63], -0.5, v[60:61]
	v_add_f64 v[20:21], v[20:21], v[50:51]
	v_add_f64 v[34:35], v[64:65], v[26:27]
	;; [unrolled: 1-line block ×5, first 2 shown]
	v_fma_f64 v[38:39], v[2:3], s[10:11], v[4:5]
	v_fma_f64 v[62:63], v[0:1], s[4:5], v[6:7]
	;; [unrolled: 1-line block ×4, first 2 shown]
	ds_load_b128 v[0:3], v150
	ds_load_b128 v[4:7], v150 offset:2448
	v_fma_f64 v[78:79], v[30:31], s[10:11], v[22:23]
	v_fma_f64 v[80:81], v[18:19], s[4:5], v[32:33]
	;; [unrolled: 1-line block ×4, first 2 shown]
	v_add_f64 v[32:33], v[24:25], -v[28:29]
	v_add_f64 v[16:17], v[16:17], v[46:47]
	v_add_f64 v[20:21], v[20:21], v[54:55]
	s_waitcnt lgkmcnt(0)
	s_barrier
	buffer_gl0_inv
	v_add_f64 v[30:31], v[0:1], v[64:65]
	v_add_f64 v[24:25], v[2:3], v[24:25]
	;; [unrolled: 1-line block ×4, first 2 shown]
	v_fma_f64 v[0:1], v[34:35], -0.5, v[0:1]
	v_add_f64 v[34:35], v[64:65], -v[26:27]
	v_fma_f64 v[2:3], v[36:37], -0.5, v[2:3]
	v_add_f64 v[10:11], v[10:11], -v[14:15]
	v_add_f64 v[8:9], v[8:9], -v[12:13]
	v_fma_f64 v[4:5], v[74:75], -0.5, v[4:5]
	v_fma_f64 v[6:7], v[76:77], -0.5, v[6:7]
	v_mul_f64 v[36:37], v[38:39], s[4:5]
	v_mul_f64 v[60:61], v[62:63], s[10:11]
	v_mul_f64 v[50:51], v[58:59], -0.5
	v_mul_f64 v[64:65], v[66:67], -0.5
	v_mul_f64 v[74:75], v[78:79], s[4:5]
	v_mul_f64 v[76:77], v[80:81], s[10:11]
	v_mul_f64 v[82:83], v[18:19], -0.5
	v_mul_f64 v[84:85], v[22:23], -0.5
	v_add_f64 v[26:27], v[30:31], v[26:27]
	v_add_f64 v[24:25], v[24:25], v[28:29]
	v_add_f64 v[28:29], v[40:41], v[44:45]
	v_add_f64 v[12:13], v[42:43], v[12:13]
	v_add_f64 v[14:15], v[56:57], v[14:15]
	v_add_f64 v[30:31], v[48:49], v[52:53]
	v_fma_f64 v[40:41], v[32:33], s[4:5], v[0:1]
	v_fma_f64 v[42:43], v[34:35], s[10:11], v[2:3]
	;; [unrolled: 1-line block ×7, first 2 shown]
	v_fma_f64 v[36:37], v[62:63], 0.5, v[36:37]
	v_fma_f64 v[38:39], v[38:39], 0.5, v[60:61]
	v_fma_f64 v[44:45], v[66:67], s[4:5], v[50:51]
	v_fma_f64 v[46:47], v[58:59], s[10:11], v[64:65]
	v_fma_f64 v[50:51], v[10:11], s[10:11], v[4:5]
	v_fma_f64 v[56:57], v[80:81], 0.5, v[74:75]
	v_fma_f64 v[58:59], v[78:79], 0.5, v[76:77]
	v_fma_f64 v[60:61], v[22:23], s[4:5], v[82:83]
	v_fma_f64 v[62:63], v[18:19], s[10:11], v[84:85]
	v_add_f64 v[2:3], v[24:25], v[16:17]
	v_add_f64 v[0:1], v[26:27], v[28:29]
	v_add_f64 v[4:5], v[26:27], -v[28:29]
	v_add_f64 v[10:11], v[14:15], v[20:21]
	v_add_f64 v[8:9], v[12:13], v[30:31]
	v_add_f64 v[6:7], v[24:25], -v[16:17]
	v_add_f64 v[12:13], v[12:13], -v[30:31]
	;; [unrolled: 1-line block ×3, first 2 shown]
	v_add_f64 v[16:17], v[40:41], v[36:37]
	v_add_f64 v[18:19], v[42:43], v[38:39]
	;; [unrolled: 1-line block ×4, first 2 shown]
	v_add_f64 v[28:29], v[32:33], -v[44:45]
	v_add_f64 v[30:31], v[34:35], -v[46:47]
	v_add_f64 v[32:33], v[48:49], v[56:57]
	v_add_f64 v[34:35], v[52:53], v[58:59]
	v_add_f64 v[24:25], v[40:41], -v[36:37]
	v_add_f64 v[26:27], v[42:43], -v[38:39]
	v_add_f64 v[36:37], v[50:51], v[60:61]
	v_add_f64 v[38:39], v[54:55], v[62:63]
	v_add_f64 v[40:41], v[48:49], -v[56:57]
	v_add_f64 v[42:43], v[52:53], -v[58:59]
	;; [unrolled: 1-line block ×4, first 2 shown]
	ds_store_b128 v150, v[0:3]
	ds_store_b128 v150, v[8:11] offset:2448
	ds_store_b128 v150, v[4:7] offset:14688
	;; [unrolled: 1-line block ×11, first 2 shown]
	s_waitcnt lgkmcnt(0)
	s_barrier
	buffer_gl0_inv
	s_and_saveexec_b32 s0, vcc_lo
	s_cbranch_execz .LBB0_23
; %bb.22:
	v_mul_lo_u32 v2, s3, v72
	v_mul_lo_u32 v3, s2, v73
	v_mad_u64_u32 v[0:1], null, s2, v72, 0
	v_lshl_add_u32 v34, v70, 4, 0
	v_dual_mov_b32 v71, 0 :: v_dual_add_nc_u32 v12, 0x99, v70
	v_lshlrev_b64 v[8:9], 4, v[68:69]
	v_add_nc_u32_e32 v22, 0x2fd, v70
	s_delay_alu instid0(VALU_DEP_3) | instskip(SKIP_4) | instid1(VALU_DEP_4)
	v_dual_mov_b32 v25, v71 :: v_dual_add_nc_u32 v24, 0x396, v70
	v_add3_u32 v1, v1, v3, v2
	v_mov_b32_e32 v13, v71
	v_lshlrev_b64 v[14:15], 4, v[70:71]
	v_mov_b32_e32 v23, v71
	v_lshlrev_b64 v[10:11], 4, v[0:1]
	ds_load_b128 v[0:3], v34
	ds_load_b128 v[4:7], v34 offset:2448
	v_lshlrev_b64 v[22:23], 4, v[22:23]
	v_add_co_u32 v10, vcc_lo, s6, v10
	v_add_co_ci_u32_e32 v11, vcc_lo, s7, v11, vcc_lo
	s_delay_alu instid0(VALU_DEP_2) | instskip(NEXT) | instid1(VALU_DEP_2)
	v_add_co_u32 v36, vcc_lo, v10, v8
	v_add_co_ci_u32_e32 v37, vcc_lo, v11, v9, vcc_lo
	v_lshlrev_b64 v[8:9], 4, v[12:13]
	v_add_nc_u32_e32 v12, 0x132, v70
	s_delay_alu instid0(VALU_DEP_4) | instskip(NEXT) | instid1(VALU_DEP_4)
	v_add_co_u32 v10, vcc_lo, v36, v14
	v_add_co_ci_u32_e32 v11, vcc_lo, v37, v15, vcc_lo
	s_delay_alu instid0(VALU_DEP_4)
	v_add_co_u32 v8, vcc_lo, v36, v8
	v_add_co_ci_u32_e32 v9, vcc_lo, v37, v9, vcc_lo
	s_waitcnt lgkmcnt(1)
	global_store_b128 v[10:11], v[0:3], off
	s_waitcnt lgkmcnt(0)
	global_store_b128 v[8:9], v[4:7], off
	v_lshlrev_b64 v[0:1], 4, v[12:13]
	v_dual_mov_b32 v9, v71 :: v_dual_add_nc_u32 v8, 0x1cb, v70
	v_dual_mov_b32 v11, v71 :: v_dual_add_nc_u32 v10, 0x264, v70
	s_delay_alu instid0(VALU_DEP_3) | instskip(NEXT) | instid1(VALU_DEP_4)
	v_add_co_u32 v16, vcc_lo, v36, v0
	v_add_co_ci_u32_e32 v17, vcc_lo, v37, v1, vcc_lo
	ds_load_b128 v[0:3], v34 offset:4896
	ds_load_b128 v[4:7], v34 offset:7344
	v_lshlrev_b64 v[18:19], 4, v[8:9]
	v_lshlrev_b64 v[20:21], 4, v[10:11]
	ds_load_b128 v[8:11], v34 offset:9792
	ds_load_b128 v[12:15], v34 offset:12240
	v_add_co_u32 v18, vcc_lo, v36, v18
	v_add_co_ci_u32_e32 v19, vcc_lo, v37, v19, vcc_lo
	v_add_co_u32 v20, vcc_lo, v36, v20
	v_add_co_ci_u32_e32 v21, vcc_lo, v37, v21, vcc_lo
	v_add_co_u32 v22, vcc_lo, v36, v22
	s_waitcnt lgkmcnt(3)
	global_store_b128 v[16:17], v[0:3], off
	s_waitcnt lgkmcnt(2)
	global_store_b128 v[18:19], v[4:7], off
	v_dual_mov_b32 v3, v71 :: v_dual_add_nc_u32 v2, 0x42f, v70
	v_add_co_ci_u32_e32 v23, vcc_lo, v37, v23, vcc_lo
	v_lshlrev_b64 v[0:1], 4, v[24:25]
	s_waitcnt lgkmcnt(1)
	global_store_b128 v[20:21], v[8:11], off
	s_waitcnt lgkmcnt(0)
	global_store_b128 v[22:23], v[12:15], off
	v_lshlrev_b64 v[8:9], 4, v[2:3]
	v_dual_mov_b32 v11, v71 :: v_dual_add_nc_u32 v10, 0x4c8, v70
	v_add_co_u32 v24, vcc_lo, v36, v0
	v_add_co_ci_u32_e32 v25, vcc_lo, v37, v1, vcc_lo
	s_delay_alu instid0(VALU_DEP_4)
	v_add_co_u32 v26, vcc_lo, v36, v8
	v_add_co_ci_u32_e32 v27, vcc_lo, v37, v9, vcc_lo
	v_lshlrev_b64 v[8:9], 4, v[10:11]
	v_dual_mov_b32 v17, v71 :: v_dual_add_nc_u32 v16, 0x561, v70
	v_dual_mov_b32 v19, v71 :: v_dual_add_nc_u32 v18, 0x5fa, v70
	ds_load_b128 v[0:3], v34 offset:14688
	ds_load_b128 v[4:7], v34 offset:17136
	v_add_co_u32 v28, vcc_lo, v36, v8
	v_add_co_ci_u32_e32 v29, vcc_lo, v37, v9, vcc_lo
	ds_load_b128 v[8:11], v34 offset:19584
	ds_load_b128 v[12:15], v34 offset:22032
	v_lshlrev_b64 v[30:31], 4, v[16:17]
	v_lshlrev_b64 v[32:33], 4, v[18:19]
	ds_load_b128 v[16:19], v34 offset:24480
	ds_load_b128 v[20:23], v34 offset:26928
	v_add_nc_u32_e32 v70, 0x693, v70
	v_add_co_u32 v30, vcc_lo, v36, v30
	s_delay_alu instid0(VALU_DEP_2) | instskip(SKIP_3) | instid1(VALU_DEP_4)
	v_lshlrev_b64 v[34:35], 4, v[70:71]
	v_add_co_ci_u32_e32 v31, vcc_lo, v37, v31, vcc_lo
	v_add_co_u32 v32, vcc_lo, v36, v32
	v_add_co_ci_u32_e32 v33, vcc_lo, v37, v33, vcc_lo
	v_add_co_u32 v34, vcc_lo, v36, v34
	v_add_co_ci_u32_e32 v35, vcc_lo, v37, v35, vcc_lo
	s_waitcnt lgkmcnt(5)
	global_store_b128 v[24:25], v[0:3], off
	s_waitcnt lgkmcnt(4)
	global_store_b128 v[26:27], v[4:7], off
	;; [unrolled: 2-line block ×6, first 2 shown]
.LBB0_23:
	s_nop 0
	s_sendmsg sendmsg(MSG_DEALLOC_VGPRS)
	s_endpgm
	.section	.rodata,"a",@progbits
	.p2align	6, 0x0
	.amdhsa_kernel fft_rtc_fwd_len1836_factors_17_3_3_2_6_wgs_153_tpt_153_halfLds_dp_op_CI_CI_unitstride_sbrr_C2R_dirReg
		.amdhsa_group_segment_fixed_size 0
		.amdhsa_private_segment_fixed_size 12
		.amdhsa_kernarg_size 104
		.amdhsa_user_sgpr_count 15
		.amdhsa_user_sgpr_dispatch_ptr 0
		.amdhsa_user_sgpr_queue_ptr 0
		.amdhsa_user_sgpr_kernarg_segment_ptr 1
		.amdhsa_user_sgpr_dispatch_id 0
		.amdhsa_user_sgpr_private_segment_size 0
		.amdhsa_wavefront_size32 1
		.amdhsa_uses_dynamic_stack 0
		.amdhsa_enable_private_segment 1
		.amdhsa_system_sgpr_workgroup_id_x 1
		.amdhsa_system_sgpr_workgroup_id_y 0
		.amdhsa_system_sgpr_workgroup_id_z 0
		.amdhsa_system_sgpr_workgroup_info 0
		.amdhsa_system_vgpr_workitem_id 0
		.amdhsa_next_free_vgpr 255
		.amdhsa_next_free_sgpr 56
		.amdhsa_reserve_vcc 1
		.amdhsa_float_round_mode_32 0
		.amdhsa_float_round_mode_16_64 0
		.amdhsa_float_denorm_mode_32 3
		.amdhsa_float_denorm_mode_16_64 3
		.amdhsa_dx10_clamp 1
		.amdhsa_ieee_mode 1
		.amdhsa_fp16_overflow 0
		.amdhsa_workgroup_processor_mode 1
		.amdhsa_memory_ordered 1
		.amdhsa_forward_progress 0
		.amdhsa_shared_vgpr_count 0
		.amdhsa_exception_fp_ieee_invalid_op 0
		.amdhsa_exception_fp_denorm_src 0
		.amdhsa_exception_fp_ieee_div_zero 0
		.amdhsa_exception_fp_ieee_overflow 0
		.amdhsa_exception_fp_ieee_underflow 0
		.amdhsa_exception_fp_ieee_inexact 0
		.amdhsa_exception_int_div_zero 0
	.end_amdhsa_kernel
	.text
.Lfunc_end0:
	.size	fft_rtc_fwd_len1836_factors_17_3_3_2_6_wgs_153_tpt_153_halfLds_dp_op_CI_CI_unitstride_sbrr_C2R_dirReg, .Lfunc_end0-fft_rtc_fwd_len1836_factors_17_3_3_2_6_wgs_153_tpt_153_halfLds_dp_op_CI_CI_unitstride_sbrr_C2R_dirReg
                                        ; -- End function
	.section	.AMDGPU.csdata,"",@progbits
; Kernel info:
; codeLenInByte = 15512
; NumSgprs: 58
; NumVgprs: 255
; ScratchSize: 12
; MemoryBound: 0
; FloatMode: 240
; IeeeMode: 1
; LDSByteSize: 0 bytes/workgroup (compile time only)
; SGPRBlocks: 7
; VGPRBlocks: 31
; NumSGPRsForWavesPerEU: 58
; NumVGPRsForWavesPerEU: 255
; Occupancy: 5
; WaveLimiterHint : 1
; COMPUTE_PGM_RSRC2:SCRATCH_EN: 1
; COMPUTE_PGM_RSRC2:USER_SGPR: 15
; COMPUTE_PGM_RSRC2:TRAP_HANDLER: 0
; COMPUTE_PGM_RSRC2:TGID_X_EN: 1
; COMPUTE_PGM_RSRC2:TGID_Y_EN: 0
; COMPUTE_PGM_RSRC2:TGID_Z_EN: 0
; COMPUTE_PGM_RSRC2:TIDIG_COMP_CNT: 0
	.text
	.p2alignl 7, 3214868480
	.fill 96, 4, 3214868480
	.type	__hip_cuid_96b4f14eed31fc23,@object ; @__hip_cuid_96b4f14eed31fc23
	.section	.bss,"aw",@nobits
	.globl	__hip_cuid_96b4f14eed31fc23
__hip_cuid_96b4f14eed31fc23:
	.byte	0                               ; 0x0
	.size	__hip_cuid_96b4f14eed31fc23, 1

	.ident	"AMD clang version 19.0.0git (https://github.com/RadeonOpenCompute/llvm-project roc-6.4.0 25133 c7fe45cf4b819c5991fe208aaa96edf142730f1d)"
	.section	".note.GNU-stack","",@progbits
	.addrsig
	.addrsig_sym __hip_cuid_96b4f14eed31fc23
	.amdgpu_metadata
---
amdhsa.kernels:
  - .args:
      - .actual_access:  read_only
        .address_space:  global
        .offset:         0
        .size:           8
        .value_kind:     global_buffer
      - .offset:         8
        .size:           8
        .value_kind:     by_value
      - .actual_access:  read_only
        .address_space:  global
        .offset:         16
        .size:           8
        .value_kind:     global_buffer
      - .actual_access:  read_only
        .address_space:  global
        .offset:         24
        .size:           8
        .value_kind:     global_buffer
      - .actual_access:  read_only
        .address_space:  global
        .offset:         32
        .size:           8
        .value_kind:     global_buffer
      - .offset:         40
        .size:           8
        .value_kind:     by_value
      - .actual_access:  read_only
        .address_space:  global
        .offset:         48
        .size:           8
        .value_kind:     global_buffer
      - .actual_access:  read_only
        .address_space:  global
        .offset:         56
        .size:           8
        .value_kind:     global_buffer
      - .offset:         64
        .size:           4
        .value_kind:     by_value
      - .actual_access:  read_only
        .address_space:  global
        .offset:         72
        .size:           8
        .value_kind:     global_buffer
      - .actual_access:  read_only
        .address_space:  global
        .offset:         80
        .size:           8
        .value_kind:     global_buffer
      - .actual_access:  read_only
        .address_space:  global
        .offset:         88
        .size:           8
        .value_kind:     global_buffer
      - .actual_access:  write_only
        .address_space:  global
        .offset:         96
        .size:           8
        .value_kind:     global_buffer
    .group_segment_fixed_size: 0
    .kernarg_segment_align: 8
    .kernarg_segment_size: 104
    .language:       OpenCL C
    .language_version:
      - 2
      - 0
    .max_flat_workgroup_size: 153
    .name:           fft_rtc_fwd_len1836_factors_17_3_3_2_6_wgs_153_tpt_153_halfLds_dp_op_CI_CI_unitstride_sbrr_C2R_dirReg
    .private_segment_fixed_size: 12
    .sgpr_count:     58
    .sgpr_spill_count: 0
    .symbol:         fft_rtc_fwd_len1836_factors_17_3_3_2_6_wgs_153_tpt_153_halfLds_dp_op_CI_CI_unitstride_sbrr_C2R_dirReg.kd
    .uniform_work_group_size: 1
    .uses_dynamic_stack: false
    .vgpr_count:     255
    .vgpr_spill_count: 2
    .wavefront_size: 32
    .workgroup_processor_mode: 1
amdhsa.target:   amdgcn-amd-amdhsa--gfx1100
amdhsa.version:
  - 1
  - 2
...

	.end_amdgpu_metadata
